;; amdgpu-corpus repo=ROCm/rocSPARSE kind=compiled arch=gfx90a opt=O3
	.text
	.amdgcn_target "amdgcn-amd-amdhsa--gfx90a"
	.amdhsa_code_object_version 6
	.section	.text._ZN9rocsparseL49gtsv_nopivot_strided_batch_pcr_pow2_shared_kernelILj2EfEEviiiPKT0_S3_S3_PS1_,"axG",@progbits,_ZN9rocsparseL49gtsv_nopivot_strided_batch_pcr_pow2_shared_kernelILj2EfEEviiiPKT0_S3_S3_PS1_,comdat
	.globl	_ZN9rocsparseL49gtsv_nopivot_strided_batch_pcr_pow2_shared_kernelILj2EfEEviiiPKT0_S3_S3_PS1_ ; -- Begin function _ZN9rocsparseL49gtsv_nopivot_strided_batch_pcr_pow2_shared_kernelILj2EfEEviiiPKT0_S3_S3_PS1_
	.p2align	8
	.type	_ZN9rocsparseL49gtsv_nopivot_strided_batch_pcr_pow2_shared_kernelILj2EfEEviiiPKT0_S3_S3_PS1_,@function
_ZN9rocsparseL49gtsv_nopivot_strided_batch_pcr_pow2_shared_kernelILj2EfEEviiiPKT0_S3_S3_PS1_: ; @_ZN9rocsparseL49gtsv_nopivot_strided_batch_pcr_pow2_shared_kernelILj2EfEEviiiPKT0_S3_S3_PS1_
; %bb.0:
	s_load_dword s0, s[4:5], 0x8
	s_load_dwordx8 s[8:15], s[4:5], 0x10
	s_waitcnt lgkmcnt(0)
	s_mul_i32 s6, s6, s0
	v_add_u32_e32 v2, s6, v0
	v_ashrrev_i32_e32 v3, 31, v2
	v_lshlrev_b64 v[2:3], 2, v[2:3]
	v_mov_b32_e32 v1, s9
	v_add_co_u32_e32 v4, vcc, s8, v2
	v_addc_co_u32_e32 v5, vcc, v1, v3, vcc
	global_load_dword v6, v[4:5], off
	v_mov_b32_e32 v1, s11
	v_add_co_u32_e32 v4, vcc, s10, v2
	v_addc_co_u32_e32 v5, vcc, v1, v3, vcc
	global_load_dword v7, v[4:5], off
	v_mov_b32_e32 v1, s13
	v_add_co_u32_e32 v4, vcc, s12, v2
	v_addc_co_u32_e32 v5, vcc, v1, v3, vcc
	v_mov_b32_e32 v1, s15
	v_add_co_u32_e32 v2, vcc, s14, v2
	v_addc_co_u32_e32 v3, vcc, v1, v3, vcc
	global_load_dword v4, v[4:5], off
	v_lshlrev_b32_e32 v1, 2, v0
	global_load_dword v5, v[2:3], off
	v_cmp_eq_u32_e32 vcc, 0, v0
	s_waitcnt vmcnt(2)
	ds_write2_b32 v1, v6, v7 offset1:4
	s_waitcnt vmcnt(0)
	ds_write2_b32 v1, v4, v5 offset0:8 offset1:16
	s_waitcnt lgkmcnt(0)
	; wave barrier
	s_waitcnt lgkmcnt(0)
	s_and_saveexec_b64 s[0:1], vcc
	s_cbranch_execz .LBB0_2
; %bb.1:
	v_mov_b32_e32 v10, 0
	v_or_b32_e32 v0, 16, v1
	v_or_b32_e32 v6, 32, v1
	ds_read2_b32 v[4:5], v10 offset0:1 offset1:5
	ds_read_b32 v11, v6
	ds_read_b32 v7, v0
	v_or_b32_e32 v0, 64, v1
	ds_read_b32 v8, v0
	ds_read_b32 v9, v10 offset:68
	s_waitcnt lgkmcnt(3)
	v_mul_f32_e32 v0, v11, v4
	s_waitcnt lgkmcnt(2)
	v_fma_f32 v0, v5, v7, -v0
	v_div_scale_f32 v6, s[2:3], v0, v0, 1.0
	v_rcp_f32_e32 v12, v6
	v_fma_f32 v13, -v6, v12, 1.0
	v_fmac_f32_e32 v12, v13, v12
	v_div_scale_f32 v13, vcc, 1.0, v0, 1.0
	v_mul_f32_e32 v14, v13, v12
	v_fma_f32 v15, -v6, v14, v13
	v_fmac_f32_e32 v14, v15, v12
	v_fma_f32 v6, -v6, v14, v13
	v_div_fmas_f32 v6, v6, v12, v14
	v_div_fixup_f32 v0, v6, v0, 1.0
	v_mov_b32_e32 v6, v5
	v_mov_b32_e32 v5, v11
	s_waitcnt lgkmcnt(0)
	v_pk_mul_f32 v[4:5], v[4:5], v[8:9]
	v_pk_fma_f32 v[4:5], v[6:7], v[8:9], v[4:5] op_sel:[0,0,1] op_sel_hi:[1,1,0] neg_lo:[0,0,1] neg_hi:[0,0,1]
	v_pk_mul_f32 v[4:5], v[0:1], v[4:5] op_sel_hi:[0,1]
	ds_write_b64 v10, v[4:5] offset:48
.LBB0_2:
	s_or_b64 exec, exec, s[0:1]
	s_waitcnt lgkmcnt(0)
	; wave barrier
	s_waitcnt lgkmcnt(0)
	ds_read_b32 v0, v1 offset:48
	s_waitcnt lgkmcnt(0)
	global_store_dword v[2:3], v0, off
	s_endpgm
	.section	.rodata,"a",@progbits
	.p2align	6, 0x0
	.amdhsa_kernel _ZN9rocsparseL49gtsv_nopivot_strided_batch_pcr_pow2_shared_kernelILj2EfEEviiiPKT0_S3_S3_PS1_
		.amdhsa_group_segment_fixed_size 76
		.amdhsa_private_segment_fixed_size 0
		.amdhsa_kernarg_size 48
		.amdhsa_user_sgpr_count 6
		.amdhsa_user_sgpr_private_segment_buffer 1
		.amdhsa_user_sgpr_dispatch_ptr 0
		.amdhsa_user_sgpr_queue_ptr 0
		.amdhsa_user_sgpr_kernarg_segment_ptr 1
		.amdhsa_user_sgpr_dispatch_id 0
		.amdhsa_user_sgpr_flat_scratch_init 0
		.amdhsa_user_sgpr_kernarg_preload_length 0
		.amdhsa_user_sgpr_kernarg_preload_offset 0
		.amdhsa_user_sgpr_private_segment_size 0
		.amdhsa_uses_dynamic_stack 0
		.amdhsa_system_sgpr_private_segment_wavefront_offset 0
		.amdhsa_system_sgpr_workgroup_id_x 1
		.amdhsa_system_sgpr_workgroup_id_y 0
		.amdhsa_system_sgpr_workgroup_id_z 0
		.amdhsa_system_sgpr_workgroup_info 0
		.amdhsa_system_vgpr_workitem_id 0
		.amdhsa_next_free_vgpr 16
		.amdhsa_next_free_sgpr 16
		.amdhsa_accum_offset 16
		.amdhsa_reserve_vcc 1
		.amdhsa_reserve_flat_scratch 0
		.amdhsa_float_round_mode_32 0
		.amdhsa_float_round_mode_16_64 0
		.amdhsa_float_denorm_mode_32 3
		.amdhsa_float_denorm_mode_16_64 3
		.amdhsa_dx10_clamp 1
		.amdhsa_ieee_mode 1
		.amdhsa_fp16_overflow 0
		.amdhsa_tg_split 0
		.amdhsa_exception_fp_ieee_invalid_op 0
		.amdhsa_exception_fp_denorm_src 0
		.amdhsa_exception_fp_ieee_div_zero 0
		.amdhsa_exception_fp_ieee_overflow 0
		.amdhsa_exception_fp_ieee_underflow 0
		.amdhsa_exception_fp_ieee_inexact 0
		.amdhsa_exception_int_div_zero 0
	.end_amdhsa_kernel
	.section	.text._ZN9rocsparseL49gtsv_nopivot_strided_batch_pcr_pow2_shared_kernelILj2EfEEviiiPKT0_S3_S3_PS1_,"axG",@progbits,_ZN9rocsparseL49gtsv_nopivot_strided_batch_pcr_pow2_shared_kernelILj2EfEEviiiPKT0_S3_S3_PS1_,comdat
.Lfunc_end0:
	.size	_ZN9rocsparseL49gtsv_nopivot_strided_batch_pcr_pow2_shared_kernelILj2EfEEviiiPKT0_S3_S3_PS1_, .Lfunc_end0-_ZN9rocsparseL49gtsv_nopivot_strided_batch_pcr_pow2_shared_kernelILj2EfEEviiiPKT0_S3_S3_PS1_
                                        ; -- End function
	.section	.AMDGPU.csdata,"",@progbits
; Kernel info:
; codeLenInByte = 396
; NumSgprs: 20
; NumVgprs: 16
; NumAgprs: 0
; TotalNumVgprs: 16
; ScratchSize: 0
; MemoryBound: 0
; FloatMode: 240
; IeeeMode: 1
; LDSByteSize: 76 bytes/workgroup (compile time only)
; SGPRBlocks: 2
; VGPRBlocks: 1
; NumSGPRsForWavesPerEU: 20
; NumVGPRsForWavesPerEU: 16
; AccumOffset: 16
; Occupancy: 8
; WaveLimiterHint : 0
; COMPUTE_PGM_RSRC2:SCRATCH_EN: 0
; COMPUTE_PGM_RSRC2:USER_SGPR: 6
; COMPUTE_PGM_RSRC2:TRAP_HANDLER: 0
; COMPUTE_PGM_RSRC2:TGID_X_EN: 1
; COMPUTE_PGM_RSRC2:TGID_Y_EN: 0
; COMPUTE_PGM_RSRC2:TGID_Z_EN: 0
; COMPUTE_PGM_RSRC2:TIDIG_COMP_CNT: 0
; COMPUTE_PGM_RSRC3_GFX90A:ACCUM_OFFSET: 3
; COMPUTE_PGM_RSRC3_GFX90A:TG_SPLIT: 0
	.section	.text._ZN9rocsparseL49gtsv_nopivot_strided_batch_pcr_pow2_shared_kernelILj4EfEEviiiPKT0_S3_S3_PS1_,"axG",@progbits,_ZN9rocsparseL49gtsv_nopivot_strided_batch_pcr_pow2_shared_kernelILj4EfEEviiiPKT0_S3_S3_PS1_,comdat
	.globl	_ZN9rocsparseL49gtsv_nopivot_strided_batch_pcr_pow2_shared_kernelILj4EfEEviiiPKT0_S3_S3_PS1_ ; -- Begin function _ZN9rocsparseL49gtsv_nopivot_strided_batch_pcr_pow2_shared_kernelILj4EfEEviiiPKT0_S3_S3_PS1_
	.p2align	8
	.type	_ZN9rocsparseL49gtsv_nopivot_strided_batch_pcr_pow2_shared_kernelILj4EfEEviiiPKT0_S3_S3_PS1_,@function
_ZN9rocsparseL49gtsv_nopivot_strided_batch_pcr_pow2_shared_kernelILj4EfEEviiiPKT0_S3_S3_PS1_: ; @_ZN9rocsparseL49gtsv_nopivot_strided_batch_pcr_pow2_shared_kernelILj4EfEEviiiPKT0_S3_S3_PS1_
; %bb.0:
	s_load_dword s0, s[4:5], 0x8
	s_load_dwordx8 s[8:15], s[4:5], 0x10
	v_max_u32_e32 v9, 1, v0
	v_min_u32_e32 v8, 2, v0
	v_lshlrev_b32_e32 v14, 2, v9
	s_waitcnt lgkmcnt(0)
	s_mul_i32 s6, s6, s0
	v_add_u32_e32 v2, s6, v0
	v_ashrrev_i32_e32 v3, 31, v2
	v_lshlrev_b64 v[2:3], 2, v[2:3]
	v_mov_b32_e32 v1, s9
	v_add_co_u32_e32 v4, vcc, s8, v2
	v_addc_co_u32_e32 v5, vcc, v1, v3, vcc
	global_load_dword v6, v[4:5], off
	v_mov_b32_e32 v1, s11
	v_add_co_u32_e32 v4, vcc, s10, v2
	v_addc_co_u32_e32 v5, vcc, v1, v3, vcc
	global_load_dword v7, v[4:5], off
	v_mov_b32_e32 v1, s13
	v_add_co_u32_e32 v4, vcc, s12, v2
	v_addc_co_u32_e32 v5, vcc, v1, v3, vcc
	v_mov_b32_e32 v1, s15
	v_add_co_u32_e32 v2, vcc, s14, v2
	v_addc_co_u32_e32 v3, vcc, v1, v3, vcc
	global_load_dword v4, v[4:5], off
	v_lshlrev_b32_e32 v1, 2, v0
	global_load_dword v5, v[2:3], off
	v_lshlrev_b32_e32 v12, 2, v8
	v_add_u32_e32 v15, -4, v14
	s_waitcnt vmcnt(2)
	ds_write2_b32 v1, v6, v7 offset1:8
	s_waitcnt vmcnt(0)
	ds_write2_b32 v1, v4, v5 offset0:16 offset1:32
	s_waitcnt lgkmcnt(0)
	; wave barrier
	s_waitcnt lgkmcnt(0)
	ds_read2_b32 v[4:5], v1 offset1:8
	ds_read2_b32 v[6:7], v14 offset0:7 offset1:15
	ds_read2_b32 v[8:9], v1 offset0:16 offset1:32
	;; [unrolled: 1-line block ×4, first 2 shown]
	ds_read_b32 v14, v14 offset:124
	ds_read_b32 v15, v15
	s_waitcnt lgkmcnt(5)
	v_div_scale_f32 v16, s[0:1], v6, v6, v4
	s_waitcnt lgkmcnt(3)
	v_div_scale_f32 v18, s[0:1], v11, v11, v8
	v_rcp_f32_e32 v19, v16
	v_rcp_f32_e32 v20, v18
	v_div_scale_f32 v17, vcc, v4, v6, v4
	v_fma_f32 v22, -v16, v19, 1.0
	v_fma_f32 v23, -v18, v20, 1.0
	v_fmac_f32_e32 v19, v22, v19
	v_div_scale_f32 v21, s[0:1], v8, v11, v8
	v_fmac_f32_e32 v20, v23, v20
	v_mul_f32_e32 v22, v17, v19
	v_mul_f32_e32 v23, v21, v20
	v_fma_f32 v24, -v16, v22, v17
	v_fma_f32 v25, -v18, v23, v21
	v_fmac_f32_e32 v22, v24, v19
	v_fmac_f32_e32 v23, v25, v20
	v_fma_f32 v16, -v16, v22, v17
	v_fma_f32 v17, -v18, v23, v21
	v_div_fmas_f32 v16, v16, v19, v22
	s_mov_b64 vcc, s[0:1]
	v_div_fixup_f32 v4, v16, v6, v4
	v_div_fmas_f32 v6, v17, v20, v23
	v_div_fixup_f32 v6, v6, v11, v8
	v_fma_f32 v5, -v4, v7, v5
	s_waitcnt lgkmcnt(1)
	v_fma_f32 v7, -v4, v14, v9
	s_waitcnt lgkmcnt(0)
	v_mul_f32_e64 v4, v4, -v15
	v_fma_f32 v5, -v6, v10, v5
	v_cmp_gt_u32_e32 vcc, 2, v0
	s_waitcnt lgkmcnt(0)
	; wave barrier
	v_fma_f32 v7, -v6, v13, v7
	v_mul_f32_e64 v6, v6, -v12
	ds_write2_b32 v1, v4, v5 offset1:8
	ds_write2_b32 v1, v6, v7 offset0:16 offset1:32
	s_waitcnt lgkmcnt(0)
	; wave barrier
	s_waitcnt lgkmcnt(0)
	s_and_saveexec_b64 s[0:1], vcc
	s_cbranch_execz .LBB1_2
; %bb.1:
	v_or_b32_e32 v4, 64, v1
	v_or_b32_e32 v0, 32, v1
	ds_read_b32 v8, v4
	ds_read_b32 v9, v1 offset:8
	ds_read2_b32 v[4:5], v0 offset1:2
	v_or_b32_e32 v6, 0x80, v1
	s_waitcnt lgkmcnt(1)
	v_mul_f32_e32 v0, v8, v9
	s_waitcnt lgkmcnt(0)
	v_fma_f32 v0, v5, v4, -v0
	v_div_scale_f32 v10, s[2:3], v0, v0, 1.0
	v_rcp_f32_e32 v11, v10
	v_div_scale_f32 v12, vcc, 1.0, v0, 1.0
	v_fma_f32 v7, -v10, v11, 1.0
	v_fmac_f32_e32 v11, v7, v11
	v_mul_f32_e32 v13, v12, v11
	v_fma_f32 v7, -v10, v13, v12
	v_fmac_f32_e32 v13, v7, v11
	ds_read2_b32 v[6:7], v6 offset1:2
	v_fma_f32 v10, -v10, v13, v12
	v_div_fmas_f32 v10, v10, v11, v13
	v_div_fixup_f32 v0, v10, v0, 1.0
	s_waitcnt lgkmcnt(0)
	v_mul_f32_e32 v8, v8, v7
	v_fma_f32 v5, v5, v6, -v8
	v_mul_f32_e32 v6, v9, v6
	v_fma_f32 v4, v4, v7, -v6
	v_mul_f32_e32 v5, v0, v5
	v_mul_f32_e32 v0, v0, v4
	ds_write2_b32 v1, v5, v0 offset0:24 offset1:26
.LBB1_2:
	s_or_b64 exec, exec, s[0:1]
	s_waitcnt lgkmcnt(0)
	; wave barrier
	s_waitcnt lgkmcnt(0)
	ds_read_b32 v0, v1 offset:96
	s_waitcnt lgkmcnt(0)
	global_store_dword v[2:3], v0, off
	s_endpgm
	.section	.rodata,"a",@progbits
	.p2align	6, 0x0
	.amdhsa_kernel _ZN9rocsparseL49gtsv_nopivot_strided_batch_pcr_pow2_shared_kernelILj4EfEEviiiPKT0_S3_S3_PS1_
		.amdhsa_group_segment_fixed_size 148
		.amdhsa_private_segment_fixed_size 0
		.amdhsa_kernarg_size 48
		.amdhsa_user_sgpr_count 6
		.amdhsa_user_sgpr_private_segment_buffer 1
		.amdhsa_user_sgpr_dispatch_ptr 0
		.amdhsa_user_sgpr_queue_ptr 0
		.amdhsa_user_sgpr_kernarg_segment_ptr 1
		.amdhsa_user_sgpr_dispatch_id 0
		.amdhsa_user_sgpr_flat_scratch_init 0
		.amdhsa_user_sgpr_kernarg_preload_length 0
		.amdhsa_user_sgpr_kernarg_preload_offset 0
		.amdhsa_user_sgpr_private_segment_size 0
		.amdhsa_uses_dynamic_stack 0
		.amdhsa_system_sgpr_private_segment_wavefront_offset 0
		.amdhsa_system_sgpr_workgroup_id_x 1
		.amdhsa_system_sgpr_workgroup_id_y 0
		.amdhsa_system_sgpr_workgroup_id_z 0
		.amdhsa_system_sgpr_workgroup_info 0
		.amdhsa_system_vgpr_workitem_id 0
		.amdhsa_next_free_vgpr 26
		.amdhsa_next_free_sgpr 16
		.amdhsa_accum_offset 28
		.amdhsa_reserve_vcc 1
		.amdhsa_reserve_flat_scratch 0
		.amdhsa_float_round_mode_32 0
		.amdhsa_float_round_mode_16_64 0
		.amdhsa_float_denorm_mode_32 3
		.amdhsa_float_denorm_mode_16_64 3
		.amdhsa_dx10_clamp 1
		.amdhsa_ieee_mode 1
		.amdhsa_fp16_overflow 0
		.amdhsa_tg_split 0
		.amdhsa_exception_fp_ieee_invalid_op 0
		.amdhsa_exception_fp_denorm_src 0
		.amdhsa_exception_fp_ieee_div_zero 0
		.amdhsa_exception_fp_ieee_overflow 0
		.amdhsa_exception_fp_ieee_underflow 0
		.amdhsa_exception_fp_ieee_inexact 0
		.amdhsa_exception_int_div_zero 0
	.end_amdhsa_kernel
	.section	.text._ZN9rocsparseL49gtsv_nopivot_strided_batch_pcr_pow2_shared_kernelILj4EfEEviiiPKT0_S3_S3_PS1_,"axG",@progbits,_ZN9rocsparseL49gtsv_nopivot_strided_batch_pcr_pow2_shared_kernelILj4EfEEviiiPKT0_S3_S3_PS1_,comdat
.Lfunc_end1:
	.size	_ZN9rocsparseL49gtsv_nopivot_strided_batch_pcr_pow2_shared_kernelILj4EfEEviiiPKT0_S3_S3_PS1_, .Lfunc_end1-_ZN9rocsparseL49gtsv_nopivot_strided_batch_pcr_pow2_shared_kernelILj4EfEEviiiPKT0_S3_S3_PS1_
                                        ; -- End function
	.section	.AMDGPU.csdata,"",@progbits
; Kernel info:
; codeLenInByte = 704
; NumSgprs: 20
; NumVgprs: 26
; NumAgprs: 0
; TotalNumVgprs: 26
; ScratchSize: 0
; MemoryBound: 0
; FloatMode: 240
; IeeeMode: 1
; LDSByteSize: 148 bytes/workgroup (compile time only)
; SGPRBlocks: 2
; VGPRBlocks: 3
; NumSGPRsForWavesPerEU: 20
; NumVGPRsForWavesPerEU: 26
; AccumOffset: 28
; Occupancy: 8
; WaveLimiterHint : 0
; COMPUTE_PGM_RSRC2:SCRATCH_EN: 0
; COMPUTE_PGM_RSRC2:USER_SGPR: 6
; COMPUTE_PGM_RSRC2:TRAP_HANDLER: 0
; COMPUTE_PGM_RSRC2:TGID_X_EN: 1
; COMPUTE_PGM_RSRC2:TGID_Y_EN: 0
; COMPUTE_PGM_RSRC2:TGID_Z_EN: 0
; COMPUTE_PGM_RSRC2:TIDIG_COMP_CNT: 0
; COMPUTE_PGM_RSRC3_GFX90A:ACCUM_OFFSET: 6
; COMPUTE_PGM_RSRC3_GFX90A:TG_SPLIT: 0
	.section	.text._ZN9rocsparseL49gtsv_nopivot_strided_batch_pcr_pow2_shared_kernelILj8EfEEviiiPKT0_S3_S3_PS1_,"axG",@progbits,_ZN9rocsparseL49gtsv_nopivot_strided_batch_pcr_pow2_shared_kernelILj8EfEEviiiPKT0_S3_S3_PS1_,comdat
	.globl	_ZN9rocsparseL49gtsv_nopivot_strided_batch_pcr_pow2_shared_kernelILj8EfEEviiiPKT0_S3_S3_PS1_ ; -- Begin function _ZN9rocsparseL49gtsv_nopivot_strided_batch_pcr_pow2_shared_kernelILj8EfEEviiiPKT0_S3_S3_PS1_
	.p2align	8
	.type	_ZN9rocsparseL49gtsv_nopivot_strided_batch_pcr_pow2_shared_kernelILj8EfEEviiiPKT0_S3_S3_PS1_,@function
_ZN9rocsparseL49gtsv_nopivot_strided_batch_pcr_pow2_shared_kernelILj8EfEEviiiPKT0_S3_S3_PS1_: ; @_ZN9rocsparseL49gtsv_nopivot_strided_batch_pcr_pow2_shared_kernelILj8EfEEviiiPKT0_S3_S3_PS1_
; %bb.0:
	s_load_dword s0, s[4:5], 0x8
	s_load_dwordx8 s[8:15], s[4:5], 0x10
	v_max_u32_e32 v9, 1, v0
	v_min_u32_e32 v8, 6, v0
	v_lshlrev_b32_e32 v14, 2, v9
	s_waitcnt lgkmcnt(0)
	s_mul_i32 s6, s6, s0
	v_add_u32_e32 v2, s6, v0
	v_ashrrev_i32_e32 v3, 31, v2
	v_lshlrev_b64 v[2:3], 2, v[2:3]
	v_mov_b32_e32 v1, s9
	v_add_co_u32_e32 v4, vcc, s8, v2
	v_addc_co_u32_e32 v5, vcc, v1, v3, vcc
	global_load_dword v6, v[4:5], off
	v_mov_b32_e32 v1, s11
	v_add_co_u32_e32 v4, vcc, s10, v2
	v_addc_co_u32_e32 v5, vcc, v1, v3, vcc
	global_load_dword v7, v[4:5], off
	v_mov_b32_e32 v1, s13
	v_add_co_u32_e32 v4, vcc, s12, v2
	v_addc_co_u32_e32 v5, vcc, v1, v3, vcc
	v_mov_b32_e32 v1, s15
	v_add_co_u32_e32 v2, vcc, s14, v2
	v_addc_co_u32_e32 v3, vcc, v1, v3, vcc
	global_load_dword v4, v[4:5], off
	v_lshlrev_b32_e32 v1, 2, v0
	global_load_dword v5, v[2:3], off
	v_min_u32_e32 v10, 5, v0
	v_max_u32_e32 v11, 2, v0
	v_lshlrev_b32_e32 v12, 2, v8
	v_add_u32_e32 v17, -4, v14
	v_lshlrev_b32_e32 v15, 2, v11
	v_lshlrev_b32_e32 v16, 2, v10
	v_add_u32_e32 v18, -8, v15
	s_waitcnt vmcnt(2)
	ds_write2_b32 v1, v6, v7 offset1:12
	s_waitcnt vmcnt(0)
	ds_write2_b32 v1, v4, v5 offset0:24 offset1:48
	s_waitcnt lgkmcnt(0)
	; wave barrier
	s_waitcnt lgkmcnt(0)
	ds_read2_b32 v[4:5], v1 offset1:12
	ds_read2_b32 v[6:7], v14 offset0:11 offset1:23
	ds_read2_b32 v[8:9], v1 offset0:24 offset1:48
	;; [unrolled: 1-line block ×4, first 2 shown]
	ds_read_b32 v14, v14 offset:188
	ds_read_b32 v17, v17
	s_waitcnt lgkmcnt(5)
	v_div_scale_f32 v19, s[0:1], v6, v6, v4
	s_waitcnt lgkmcnt(3)
	v_div_scale_f32 v21, s[0:1], v11, v11, v8
	v_rcp_f32_e32 v22, v19
	v_rcp_f32_e32 v23, v21
	v_div_scale_f32 v20, vcc, v4, v6, v4
	v_fma_f32 v25, -v19, v22, 1.0
	v_fma_f32 v26, -v21, v23, 1.0
	v_fmac_f32_e32 v22, v25, v22
	v_div_scale_f32 v24, s[0:1], v8, v11, v8
	v_fmac_f32_e32 v23, v26, v23
	v_mul_f32_e32 v25, v20, v22
	v_mul_f32_e32 v26, v24, v23
	v_fma_f32 v27, -v19, v25, v20
	v_fma_f32 v28, -v21, v26, v24
	v_fmac_f32_e32 v25, v27, v22
	v_fmac_f32_e32 v26, v28, v23
	v_fma_f32 v19, -v19, v25, v20
	v_fma_f32 v20, -v21, v26, v24
	v_div_fmas_f32 v19, v19, v22, v25
	s_mov_b64 vcc, s[0:1]
	v_div_fixup_f32 v4, v19, v6, v4
	v_div_fmas_f32 v6, v20, v23, v26
	v_div_fixup_f32 v6, v6, v11, v8
	v_fma_f32 v5, -v4, v7, v5
	s_waitcnt lgkmcnt(1)
	v_fma_f32 v7, -v4, v14, v9
	s_waitcnt lgkmcnt(0)
	v_mul_f32_e64 v4, v4, -v17
	v_fma_f32 v5, -v6, v10, v5
	v_fma_f32 v7, -v6, v13, v7
	v_mul_f32_e64 v6, v6, -v12
	s_waitcnt lgkmcnt(0)
	; wave barrier
	ds_write2_b32 v1, v4, v5 offset1:12
	ds_write2_b32 v1, v6, v7 offset0:24 offset1:48
	s_waitcnt lgkmcnt(0)
	; wave barrier
	s_waitcnt lgkmcnt(0)
	ds_read2_b32 v[4:5], v1 offset1:12
	ds_read2_b32 v[6:7], v15 offset0:10 offset1:22
	ds_read2_b32 v[8:9], v1 offset0:24 offset1:48
	;; [unrolled: 1-line block ×4, first 2 shown]
	ds_read_b32 v14, v15 offset:184
	ds_read_b32 v15, v18
	s_waitcnt lgkmcnt(5)
	v_div_scale_f32 v16, s[0:1], v6, v6, v4
	s_waitcnt lgkmcnt(3)
	v_div_scale_f32 v18, s[0:1], v11, v11, v8
	v_rcp_f32_e32 v19, v16
	v_rcp_f32_e32 v20, v18
	v_div_scale_f32 v17, vcc, v4, v6, v4
	v_fma_f32 v22, -v16, v19, 1.0
	v_fma_f32 v23, -v18, v20, 1.0
	v_fmac_f32_e32 v19, v22, v19
	v_div_scale_f32 v21, s[0:1], v8, v11, v8
	v_fmac_f32_e32 v20, v23, v20
	v_mul_f32_e32 v22, v17, v19
	v_mul_f32_e32 v23, v21, v20
	v_fma_f32 v24, -v16, v22, v17
	v_fma_f32 v25, -v18, v23, v21
	v_fmac_f32_e32 v22, v24, v19
	v_fmac_f32_e32 v23, v25, v20
	v_fma_f32 v16, -v16, v22, v17
	v_fma_f32 v17, -v18, v23, v21
	v_div_fmas_f32 v16, v16, v19, v22
	s_mov_b64 vcc, s[0:1]
	v_div_fixup_f32 v4, v16, v6, v4
	v_div_fmas_f32 v6, v17, v20, v23
	v_div_fixup_f32 v6, v6, v11, v8
	v_fma_f32 v5, -v4, v7, v5
	v_fma_f32 v5, -v6, v10, v5
	s_waitcnt lgkmcnt(1)
	v_fma_f32 v7, -v4, v14, v9
	s_waitcnt lgkmcnt(0)
	v_mul_f32_e64 v4, v4, -v15
	v_cmp_gt_u32_e32 vcc, 4, v0
	v_fma_f32 v7, -v6, v13, v7
	v_mul_f32_e64 v6, v6, -v12
	s_waitcnt lgkmcnt(0)
	; wave barrier
	ds_write2_b32 v1, v4, v5 offset1:12
	ds_write2_b32 v1, v6, v7 offset0:24 offset1:48
	s_waitcnt lgkmcnt(0)
	; wave barrier
	s_waitcnt lgkmcnt(0)
	s_and_saveexec_b64 s[0:1], vcc
	s_cbranch_execz .LBB2_2
; %bb.1:
	v_or_b32_e32 v4, 0x60, v1
	v_add_u32_e32 v0, 48, v1
	ds_read_b32 v8, v4
	ds_read_b32 v9, v1 offset:16
	ds_read2_b32 v[4:5], v0 offset1:4
	v_or_b32_e32 v6, 0xc0, v1
	s_waitcnt lgkmcnt(1)
	v_mul_f32_e32 v0, v8, v9
	s_waitcnt lgkmcnt(0)
	v_fma_f32 v0, v5, v4, -v0
	v_div_scale_f32 v10, s[2:3], v0, v0, 1.0
	v_rcp_f32_e32 v11, v10
	v_div_scale_f32 v12, vcc, 1.0, v0, 1.0
	v_fma_f32 v7, -v10, v11, 1.0
	v_fmac_f32_e32 v11, v7, v11
	v_mul_f32_e32 v13, v12, v11
	v_fma_f32 v7, -v10, v13, v12
	v_fmac_f32_e32 v13, v7, v11
	ds_read2_b32 v[6:7], v6 offset1:4
	v_fma_f32 v10, -v10, v13, v12
	v_div_fmas_f32 v10, v10, v11, v13
	v_div_fixup_f32 v0, v10, v0, 1.0
	s_waitcnt lgkmcnt(0)
	v_mul_f32_e32 v8, v8, v7
	v_fma_f32 v5, v5, v6, -v8
	v_mul_f32_e32 v6, v9, v6
	v_fma_f32 v4, v4, v7, -v6
	v_mul_f32_e32 v5, v0, v5
	v_mul_f32_e32 v0, v0, v4
	ds_write2_b32 v1, v5, v0 offset0:36 offset1:40
.LBB2_2:
	s_or_b64 exec, exec, s[0:1]
	s_waitcnt lgkmcnt(0)
	; wave barrier
	s_waitcnt lgkmcnt(0)
	ds_read_b32 v0, v1 offset:144
	s_waitcnt lgkmcnt(0)
	global_store_dword v[2:3], v0, off
	s_endpgm
	.section	.rodata,"a",@progbits
	.p2align	6, 0x0
	.amdhsa_kernel _ZN9rocsparseL49gtsv_nopivot_strided_batch_pcr_pow2_shared_kernelILj8EfEEviiiPKT0_S3_S3_PS1_
		.amdhsa_group_segment_fixed_size 228
		.amdhsa_private_segment_fixed_size 0
		.amdhsa_kernarg_size 48
		.amdhsa_user_sgpr_count 6
		.amdhsa_user_sgpr_private_segment_buffer 1
		.amdhsa_user_sgpr_dispatch_ptr 0
		.amdhsa_user_sgpr_queue_ptr 0
		.amdhsa_user_sgpr_kernarg_segment_ptr 1
		.amdhsa_user_sgpr_dispatch_id 0
		.amdhsa_user_sgpr_flat_scratch_init 0
		.amdhsa_user_sgpr_kernarg_preload_length 0
		.amdhsa_user_sgpr_kernarg_preload_offset 0
		.amdhsa_user_sgpr_private_segment_size 0
		.amdhsa_uses_dynamic_stack 0
		.amdhsa_system_sgpr_private_segment_wavefront_offset 0
		.amdhsa_system_sgpr_workgroup_id_x 1
		.amdhsa_system_sgpr_workgroup_id_y 0
		.amdhsa_system_sgpr_workgroup_id_z 0
		.amdhsa_system_sgpr_workgroup_info 0
		.amdhsa_system_vgpr_workitem_id 0
		.amdhsa_next_free_vgpr 29
		.amdhsa_next_free_sgpr 16
		.amdhsa_accum_offset 32
		.amdhsa_reserve_vcc 1
		.amdhsa_reserve_flat_scratch 0
		.amdhsa_float_round_mode_32 0
		.amdhsa_float_round_mode_16_64 0
		.amdhsa_float_denorm_mode_32 3
		.amdhsa_float_denorm_mode_16_64 3
		.amdhsa_dx10_clamp 1
		.amdhsa_ieee_mode 1
		.amdhsa_fp16_overflow 0
		.amdhsa_tg_split 0
		.amdhsa_exception_fp_ieee_invalid_op 0
		.amdhsa_exception_fp_denorm_src 0
		.amdhsa_exception_fp_ieee_div_zero 0
		.amdhsa_exception_fp_ieee_overflow 0
		.amdhsa_exception_fp_ieee_underflow 0
		.amdhsa_exception_fp_ieee_inexact 0
		.amdhsa_exception_int_div_zero 0
	.end_amdhsa_kernel
	.section	.text._ZN9rocsparseL49gtsv_nopivot_strided_batch_pcr_pow2_shared_kernelILj8EfEEviiiPKT0_S3_S3_PS1_,"axG",@progbits,_ZN9rocsparseL49gtsv_nopivot_strided_batch_pcr_pow2_shared_kernelILj8EfEEviiiPKT0_S3_S3_PS1_,comdat
.Lfunc_end2:
	.size	_ZN9rocsparseL49gtsv_nopivot_strided_batch_pcr_pow2_shared_kernelILj8EfEEviiiPKT0_S3_S3_PS1_, .Lfunc_end2-_ZN9rocsparseL49gtsv_nopivot_strided_batch_pcr_pow2_shared_kernelILj8EfEEviiiPKT0_S3_S3_PS1_
                                        ; -- End function
	.section	.AMDGPU.csdata,"",@progbits
; Kernel info:
; codeLenInByte = 1024
; NumSgprs: 20
; NumVgprs: 29
; NumAgprs: 0
; TotalNumVgprs: 29
; ScratchSize: 0
; MemoryBound: 0
; FloatMode: 240
; IeeeMode: 1
; LDSByteSize: 228 bytes/workgroup (compile time only)
; SGPRBlocks: 2
; VGPRBlocks: 3
; NumSGPRsForWavesPerEU: 20
; NumVGPRsForWavesPerEU: 29
; AccumOffset: 32
; Occupancy: 8
; WaveLimiterHint : 0
; COMPUTE_PGM_RSRC2:SCRATCH_EN: 0
; COMPUTE_PGM_RSRC2:USER_SGPR: 6
; COMPUTE_PGM_RSRC2:TRAP_HANDLER: 0
; COMPUTE_PGM_RSRC2:TGID_X_EN: 1
; COMPUTE_PGM_RSRC2:TGID_Y_EN: 0
; COMPUTE_PGM_RSRC2:TGID_Z_EN: 0
; COMPUTE_PGM_RSRC2:TIDIG_COMP_CNT: 0
; COMPUTE_PGM_RSRC3_GFX90A:ACCUM_OFFSET: 7
; COMPUTE_PGM_RSRC3_GFX90A:TG_SPLIT: 0
	.section	.text._ZN9rocsparseL49gtsv_nopivot_strided_batch_pcr_pow2_shared_kernelILj16EfEEviiiPKT0_S3_S3_PS1_,"axG",@progbits,_ZN9rocsparseL49gtsv_nopivot_strided_batch_pcr_pow2_shared_kernelILj16EfEEviiiPKT0_S3_S3_PS1_,comdat
	.globl	_ZN9rocsparseL49gtsv_nopivot_strided_batch_pcr_pow2_shared_kernelILj16EfEEviiiPKT0_S3_S3_PS1_ ; -- Begin function _ZN9rocsparseL49gtsv_nopivot_strided_batch_pcr_pow2_shared_kernelILj16EfEEviiiPKT0_S3_S3_PS1_
	.p2align	8
	.type	_ZN9rocsparseL49gtsv_nopivot_strided_batch_pcr_pow2_shared_kernelILj16EfEEviiiPKT0_S3_S3_PS1_,@function
_ZN9rocsparseL49gtsv_nopivot_strided_batch_pcr_pow2_shared_kernelILj16EfEEviiiPKT0_S3_S3_PS1_: ; @_ZN9rocsparseL49gtsv_nopivot_strided_batch_pcr_pow2_shared_kernelILj16EfEEviiiPKT0_S3_S3_PS1_
; %bb.0:
	s_load_dword s0, s[4:5], 0x8
	s_load_dwordx8 s[8:15], s[4:5], 0x10
	v_max_u32_e32 v9, 1, v0
	v_min_u32_e32 v8, 14, v0
	v_lshlrev_b32_e32 v14, 2, v9
	s_waitcnt lgkmcnt(0)
	s_mul_i32 s6, s6, s0
	v_add_u32_e32 v2, s6, v0
	v_ashrrev_i32_e32 v3, 31, v2
	v_lshlrev_b64 v[2:3], 2, v[2:3]
	v_mov_b32_e32 v1, s9
	v_add_co_u32_e32 v4, vcc, s8, v2
	v_addc_co_u32_e32 v5, vcc, v1, v3, vcc
	global_load_dword v6, v[4:5], off
	v_mov_b32_e32 v1, s11
	v_add_co_u32_e32 v4, vcc, s10, v2
	v_addc_co_u32_e32 v5, vcc, v1, v3, vcc
	global_load_dword v7, v[4:5], off
	v_mov_b32_e32 v1, s13
	v_add_co_u32_e32 v4, vcc, s12, v2
	v_addc_co_u32_e32 v5, vcc, v1, v3, vcc
	v_mov_b32_e32 v1, s15
	v_add_co_u32_e32 v2, vcc, s14, v2
	v_addc_co_u32_e32 v3, vcc, v1, v3, vcc
	global_load_dword v4, v[4:5], off
	v_lshlrev_b32_e32 v1, 2, v0
	global_load_dword v5, v[2:3], off
	v_min_u32_e32 v10, 13, v0
	v_max_u32_e32 v11, 2, v0
	v_lshlrev_b32_e32 v12, 2, v8
	v_add_u32_e32 v17, -4, v14
	v_lshlrev_b32_e32 v15, 2, v11
	v_lshlrev_b32_e32 v16, 2, v10
	v_add_u32_e32 v18, -8, v15
	s_waitcnt vmcnt(2)
	ds_write2_b32 v1, v6, v7 offset1:20
	s_waitcnt vmcnt(0)
	ds_write2_b32 v1, v4, v5 offset0:40 offset1:80
	s_waitcnt lgkmcnt(0)
	; wave barrier
	s_waitcnt lgkmcnt(0)
	ds_read2_b32 v[4:5], v1 offset1:20
	ds_read2_b32 v[6:7], v14 offset0:19 offset1:39
	ds_read2_b32 v[8:9], v1 offset0:40 offset1:80
	;; [unrolled: 1-line block ×4, first 2 shown]
	ds_read_b32 v14, v14 offset:316
	ds_read_b32 v17, v17
	s_waitcnt lgkmcnt(5)
	v_div_scale_f32 v19, s[0:1], v6, v6, v4
	s_waitcnt lgkmcnt(3)
	v_div_scale_f32 v21, s[0:1], v11, v11, v8
	v_rcp_f32_e32 v22, v19
	v_rcp_f32_e32 v23, v21
	v_div_scale_f32 v20, vcc, v4, v6, v4
	v_fma_f32 v25, -v19, v22, 1.0
	v_fma_f32 v26, -v21, v23, 1.0
	v_fmac_f32_e32 v22, v25, v22
	v_div_scale_f32 v24, s[0:1], v8, v11, v8
	v_fmac_f32_e32 v23, v26, v23
	v_mul_f32_e32 v25, v20, v22
	v_mul_f32_e32 v26, v24, v23
	v_fma_f32 v27, -v19, v25, v20
	v_fma_f32 v28, -v21, v26, v24
	v_fmac_f32_e32 v25, v27, v22
	v_fmac_f32_e32 v26, v28, v23
	v_fma_f32 v19, -v19, v25, v20
	v_fma_f32 v20, -v21, v26, v24
	v_div_fmas_f32 v19, v19, v22, v25
	s_mov_b64 vcc, s[0:1]
	v_div_fixup_f32 v4, v19, v6, v4
	v_div_fmas_f32 v6, v20, v23, v26
	v_div_fixup_f32 v6, v6, v11, v8
	v_fma_f32 v5, -v4, v7, v5
	s_waitcnt lgkmcnt(1)
	v_fma_f32 v7, -v4, v14, v9
	s_waitcnt lgkmcnt(0)
	v_mul_f32_e64 v4, v4, -v17
	v_fma_f32 v5, -v6, v10, v5
	v_fma_f32 v7, -v6, v13, v7
	v_mul_f32_e64 v6, v6, -v12
	s_waitcnt lgkmcnt(0)
	; wave barrier
	ds_write2_b32 v1, v4, v5 offset1:20
	ds_write2_b32 v1, v6, v7 offset0:40 offset1:80
	s_waitcnt lgkmcnt(0)
	; wave barrier
	s_waitcnt lgkmcnt(0)
	ds_read2_b32 v[4:5], v1 offset1:20
	ds_read2_b32 v[6:7], v15 offset0:18 offset1:38
	ds_read2_b32 v[8:9], v1 offset0:40 offset1:80
	;; [unrolled: 1-line block ×4, first 2 shown]
	ds_read_b32 v14, v15 offset:312
	ds_read_b32 v15, v18
	s_waitcnt lgkmcnt(5)
	v_div_scale_f32 v16, s[0:1], v6, v6, v4
	s_waitcnt lgkmcnt(3)
	v_div_scale_f32 v18, s[0:1], v11, v11, v8
	v_rcp_f32_e32 v19, v16
	v_rcp_f32_e32 v20, v18
	v_div_scale_f32 v17, vcc, v4, v6, v4
	v_fma_f32 v22, -v16, v19, 1.0
	v_fma_f32 v23, -v18, v20, 1.0
	v_fmac_f32_e32 v19, v22, v19
	v_div_scale_f32 v21, s[0:1], v8, v11, v8
	v_fmac_f32_e32 v20, v23, v20
	v_mul_f32_e32 v22, v17, v19
	v_mul_f32_e32 v23, v21, v20
	v_fma_f32 v24, -v16, v22, v17
	v_fma_f32 v25, -v18, v23, v21
	v_fmac_f32_e32 v22, v24, v19
	v_fmac_f32_e32 v23, v25, v20
	v_fma_f32 v16, -v16, v22, v17
	v_fma_f32 v17, -v18, v23, v21
	v_div_fmas_f32 v16, v16, v19, v22
	s_mov_b64 vcc, s[0:1]
	v_div_fixup_f32 v4, v16, v6, v4
	v_div_fmas_f32 v6, v17, v20, v23
	v_div_fixup_f32 v6, v6, v11, v8
	v_fma_f32 v5, -v4, v7, v5
	v_fma_f32 v5, -v6, v10, v5
	s_waitcnt lgkmcnt(1)
	v_fma_f32 v7, -v4, v14, v9
	s_waitcnt lgkmcnt(0)
	v_mul_f32_e64 v4, v4, -v15
	v_fma_f32 v7, -v6, v13, v7
	v_mul_f32_e64 v6, v6, -v12
	s_waitcnt lgkmcnt(0)
	; wave barrier
	ds_write2_b32 v1, v4, v5 offset1:20
	ds_write2_b32 v1, v6, v7 offset0:40 offset1:80
	v_max_u32_e32 v4, 4, v0
	s_waitcnt lgkmcnt(0)
	; wave barrier
	s_waitcnt lgkmcnt(0)
	v_lshlrev_b32_e32 v12, 2, v4
	ds_read2_b32 v[4:5], v1 offset1:20
	ds_read2_b32 v[6:7], v12 offset0:16 offset1:36
	v_min_u32_e32 v10, 11, v0
	v_lshlrev_b32_e32 v18, 2, v10
	ds_read2_b32 v[10:11], v18 offset0:4 offset1:24
	v_add_u32_e32 v15, -16, v12
	s_waitcnt lgkmcnt(1)
	v_div_scale_f32 v13, s[0:1], v6, v6, v4
	v_rcp_f32_e32 v14, v13
	v_div_scale_f32 v16, vcc, v4, v6, v4
	v_fma_f32 v8, -v13, v14, 1.0
	v_fmac_f32_e32 v14, v8, v14
	ds_read2_b32 v[8:9], v1 offset0:40 offset1:80
	v_mul_f32_e32 v17, v16, v14
	v_fma_f32 v19, -v13, v17, v16
	v_fmac_f32_e32 v17, v19, v14
	v_fma_f32 v13, -v13, v17, v16
	s_waitcnt lgkmcnt(0)
	v_div_scale_f32 v16, s[0:1], v11, v11, v8
	v_rcp_f32_e32 v19, v16
	v_div_fmas_f32 v13, v13, v14, v17
	v_div_fixup_f32 v4, v13, v6, v4
	v_fma_f32 v5, -v4, v7, v5
	v_fma_f32 v6, -v16, v19, 1.0
	v_fmac_f32_e32 v19, v6, v19
	v_div_scale_f32 v6, vcc, v8, v11, v8
	v_mul_f32_e32 v13, v6, v19
	v_fma_f32 v14, -v16, v13, v6
	v_fmac_f32_e32 v13, v14, v19
	v_fma_f32 v6, -v16, v13, v6
	v_div_fmas_f32 v6, v6, v19, v13
	v_div_fixup_f32 v6, v6, v11, v8
	ds_read_b32 v8, v12 offset:304
	ds_read2_b32 v[12:13], v18 offset0:44 offset1:84
	ds_read_b32 v11, v15
	v_fma_f32 v5, -v6, v10, v5
	v_cmp_gt_u32_e32 vcc, 8, v0
	s_waitcnt lgkmcnt(2)
	v_fma_f32 v7, -v4, v8, v9
	s_waitcnt lgkmcnt(1)
	v_fma_f32 v7, -v6, v13, v7
	s_waitcnt lgkmcnt(0)
	v_mul_f32_e64 v4, v4, -v11
	v_mul_f32_e64 v6, v6, -v12
	s_waitcnt lgkmcnt(0)
	; wave barrier
	ds_write2_b32 v1, v4, v5 offset1:20
	ds_write2_b32 v1, v6, v7 offset0:40 offset1:80
	s_waitcnt lgkmcnt(0)
	; wave barrier
	s_waitcnt lgkmcnt(0)
	s_and_saveexec_b64 s[0:1], vcc
	s_cbranch_execz .LBB3_2
; %bb.1:
	v_add_u32_e32 v4, 0xa0, v1
	v_add_u32_e32 v0, 0x50, v1
	ds_read_b32 v8, v4
	ds_read_b32 v9, v1 offset:32
	ds_read2_b32 v[4:5], v0 offset1:8
	v_or_b32_e32 v6, 0x140, v1
	s_waitcnt lgkmcnt(1)
	v_mul_f32_e32 v0, v8, v9
	s_waitcnt lgkmcnt(0)
	v_fma_f32 v0, v5, v4, -v0
	v_div_scale_f32 v10, s[2:3], v0, v0, 1.0
	v_rcp_f32_e32 v11, v10
	v_div_scale_f32 v12, vcc, 1.0, v0, 1.0
	v_fma_f32 v7, -v10, v11, 1.0
	v_fmac_f32_e32 v11, v7, v11
	v_mul_f32_e32 v13, v12, v11
	v_fma_f32 v7, -v10, v13, v12
	v_fmac_f32_e32 v13, v7, v11
	ds_read2_b32 v[6:7], v6 offset1:8
	v_fma_f32 v10, -v10, v13, v12
	v_div_fmas_f32 v10, v10, v11, v13
	v_div_fixup_f32 v0, v10, v0, 1.0
	s_waitcnt lgkmcnt(0)
	v_mul_f32_e32 v8, v8, v7
	v_fma_f32 v5, v5, v6, -v8
	v_mul_f32_e32 v6, v9, v6
	v_fma_f32 v4, v4, v7, -v6
	v_mul_f32_e32 v5, v0, v5
	v_mul_f32_e32 v0, v0, v4
	ds_write2_b32 v1, v5, v0 offset0:60 offset1:68
.LBB3_2:
	s_or_b64 exec, exec, s[0:1]
	s_waitcnt lgkmcnt(0)
	; wave barrier
	s_waitcnt lgkmcnt(0)
	ds_read_b32 v0, v1 offset:240
	s_waitcnt lgkmcnt(0)
	global_store_dword v[2:3], v0, off
	s_endpgm
	.section	.rodata,"a",@progbits
	.p2align	6, 0x0
	.amdhsa_kernel _ZN9rocsparseL49gtsv_nopivot_strided_batch_pcr_pow2_shared_kernelILj16EfEEviiiPKT0_S3_S3_PS1_
		.amdhsa_group_segment_fixed_size 388
		.amdhsa_private_segment_fixed_size 0
		.amdhsa_kernarg_size 48
		.amdhsa_user_sgpr_count 6
		.amdhsa_user_sgpr_private_segment_buffer 1
		.amdhsa_user_sgpr_dispatch_ptr 0
		.amdhsa_user_sgpr_queue_ptr 0
		.amdhsa_user_sgpr_kernarg_segment_ptr 1
		.amdhsa_user_sgpr_dispatch_id 0
		.amdhsa_user_sgpr_flat_scratch_init 0
		.amdhsa_user_sgpr_kernarg_preload_length 0
		.amdhsa_user_sgpr_kernarg_preload_offset 0
		.amdhsa_user_sgpr_private_segment_size 0
		.amdhsa_uses_dynamic_stack 0
		.amdhsa_system_sgpr_private_segment_wavefront_offset 0
		.amdhsa_system_sgpr_workgroup_id_x 1
		.amdhsa_system_sgpr_workgroup_id_y 0
		.amdhsa_system_sgpr_workgroup_id_z 0
		.amdhsa_system_sgpr_workgroup_info 0
		.amdhsa_system_vgpr_workitem_id 0
		.amdhsa_next_free_vgpr 29
		.amdhsa_next_free_sgpr 16
		.amdhsa_accum_offset 32
		.amdhsa_reserve_vcc 1
		.amdhsa_reserve_flat_scratch 0
		.amdhsa_float_round_mode_32 0
		.amdhsa_float_round_mode_16_64 0
		.amdhsa_float_denorm_mode_32 3
		.amdhsa_float_denorm_mode_16_64 3
		.amdhsa_dx10_clamp 1
		.amdhsa_ieee_mode 1
		.amdhsa_fp16_overflow 0
		.amdhsa_tg_split 0
		.amdhsa_exception_fp_ieee_invalid_op 0
		.amdhsa_exception_fp_denorm_src 0
		.amdhsa_exception_fp_ieee_div_zero 0
		.amdhsa_exception_fp_ieee_overflow 0
		.amdhsa_exception_fp_ieee_underflow 0
		.amdhsa_exception_fp_ieee_inexact 0
		.amdhsa_exception_int_div_zero 0
	.end_amdhsa_kernel
	.section	.text._ZN9rocsparseL49gtsv_nopivot_strided_batch_pcr_pow2_shared_kernelILj16EfEEviiiPKT0_S3_S3_PS1_,"axG",@progbits,_ZN9rocsparseL49gtsv_nopivot_strided_batch_pcr_pow2_shared_kernelILj16EfEEviiiPKT0_S3_S3_PS1_,comdat
.Lfunc_end3:
	.size	_ZN9rocsparseL49gtsv_nopivot_strided_batch_pcr_pow2_shared_kernelILj16EfEEviiiPKT0_S3_S3_PS1_, .Lfunc_end3-_ZN9rocsparseL49gtsv_nopivot_strided_batch_pcr_pow2_shared_kernelILj16EfEEviiiPKT0_S3_S3_PS1_
                                        ; -- End function
	.section	.AMDGPU.csdata,"",@progbits
; Kernel info:
; codeLenInByte = 1344
; NumSgprs: 20
; NumVgprs: 29
; NumAgprs: 0
; TotalNumVgprs: 29
; ScratchSize: 0
; MemoryBound: 0
; FloatMode: 240
; IeeeMode: 1
; LDSByteSize: 388 bytes/workgroup (compile time only)
; SGPRBlocks: 2
; VGPRBlocks: 3
; NumSGPRsForWavesPerEU: 20
; NumVGPRsForWavesPerEU: 29
; AccumOffset: 32
; Occupancy: 8
; WaveLimiterHint : 0
; COMPUTE_PGM_RSRC2:SCRATCH_EN: 0
; COMPUTE_PGM_RSRC2:USER_SGPR: 6
; COMPUTE_PGM_RSRC2:TRAP_HANDLER: 0
; COMPUTE_PGM_RSRC2:TGID_X_EN: 1
; COMPUTE_PGM_RSRC2:TGID_Y_EN: 0
; COMPUTE_PGM_RSRC2:TGID_Z_EN: 0
; COMPUTE_PGM_RSRC2:TIDIG_COMP_CNT: 0
; COMPUTE_PGM_RSRC3_GFX90A:ACCUM_OFFSET: 7
; COMPUTE_PGM_RSRC3_GFX90A:TG_SPLIT: 0
	.section	.text._ZN9rocsparseL49gtsv_nopivot_strided_batch_pcr_pow2_shared_kernelILj32EfEEviiiPKT0_S3_S3_PS1_,"axG",@progbits,_ZN9rocsparseL49gtsv_nopivot_strided_batch_pcr_pow2_shared_kernelILj32EfEEviiiPKT0_S3_S3_PS1_,comdat
	.globl	_ZN9rocsparseL49gtsv_nopivot_strided_batch_pcr_pow2_shared_kernelILj32EfEEviiiPKT0_S3_S3_PS1_ ; -- Begin function _ZN9rocsparseL49gtsv_nopivot_strided_batch_pcr_pow2_shared_kernelILj32EfEEviiiPKT0_S3_S3_PS1_
	.p2align	8
	.type	_ZN9rocsparseL49gtsv_nopivot_strided_batch_pcr_pow2_shared_kernelILj32EfEEviiiPKT0_S3_S3_PS1_,@function
_ZN9rocsparseL49gtsv_nopivot_strided_batch_pcr_pow2_shared_kernelILj32EfEEviiiPKT0_S3_S3_PS1_: ; @_ZN9rocsparseL49gtsv_nopivot_strided_batch_pcr_pow2_shared_kernelILj32EfEEviiiPKT0_S3_S3_PS1_
; %bb.0:
	s_load_dword s0, s[4:5], 0x8
	s_load_dwordx8 s[8:15], s[4:5], 0x10
	v_max_u32_e32 v9, 1, v0
	v_min_u32_e32 v8, 30, v0
	v_lshlrev_b32_e32 v14, 2, v9
	s_waitcnt lgkmcnt(0)
	s_mul_i32 s6, s6, s0
	v_add_u32_e32 v2, s6, v0
	v_ashrrev_i32_e32 v3, 31, v2
	v_lshlrev_b64 v[2:3], 2, v[2:3]
	v_mov_b32_e32 v1, s9
	v_add_co_u32_e32 v4, vcc, s8, v2
	v_addc_co_u32_e32 v5, vcc, v1, v3, vcc
	global_load_dword v6, v[4:5], off
	v_mov_b32_e32 v1, s11
	v_add_co_u32_e32 v4, vcc, s10, v2
	v_addc_co_u32_e32 v5, vcc, v1, v3, vcc
	global_load_dword v7, v[4:5], off
	v_mov_b32_e32 v1, s13
	v_add_co_u32_e32 v4, vcc, s12, v2
	v_addc_co_u32_e32 v5, vcc, v1, v3, vcc
	v_mov_b32_e32 v1, s15
	v_add_co_u32_e32 v2, vcc, s14, v2
	v_addc_co_u32_e32 v3, vcc, v1, v3, vcc
	global_load_dword v4, v[4:5], off
	v_lshlrev_b32_e32 v1, 2, v0
	global_load_dword v5, v[2:3], off
	v_min_u32_e32 v10, 29, v0
	v_max_u32_e32 v11, 2, v0
	v_lshlrev_b32_e32 v12, 2, v8
	v_add_u32_e32 v17, -4, v14
	v_lshlrev_b32_e32 v15, 2, v11
	v_lshlrev_b32_e32 v16, 2, v10
	v_add_u32_e32 v18, -8, v15
	s_waitcnt vmcnt(2)
	ds_write2_b32 v1, v6, v7 offset1:36
	s_waitcnt vmcnt(0)
	ds_write2_b32 v1, v4, v5 offset0:72 offset1:144
	s_waitcnt lgkmcnt(0)
	; wave barrier
	s_waitcnt lgkmcnt(0)
	ds_read2_b32 v[4:5], v1 offset1:36
	ds_read2_b32 v[6:7], v14 offset0:35 offset1:71
	ds_read2_b32 v[8:9], v1 offset0:72 offset1:144
	;; [unrolled: 1-line block ×4, first 2 shown]
	ds_read_b32 v14, v14 offset:572
	ds_read_b32 v17, v17
	s_waitcnt lgkmcnt(5)
	v_div_scale_f32 v19, s[0:1], v6, v6, v4
	s_waitcnt lgkmcnt(3)
	v_div_scale_f32 v21, s[0:1], v11, v11, v8
	v_rcp_f32_e32 v22, v19
	v_rcp_f32_e32 v23, v21
	v_div_scale_f32 v20, vcc, v4, v6, v4
	v_fma_f32 v25, -v19, v22, 1.0
	v_fma_f32 v26, -v21, v23, 1.0
	v_fmac_f32_e32 v22, v25, v22
	v_div_scale_f32 v24, s[0:1], v8, v11, v8
	v_fmac_f32_e32 v23, v26, v23
	v_mul_f32_e32 v25, v20, v22
	v_mul_f32_e32 v26, v24, v23
	v_fma_f32 v27, -v19, v25, v20
	v_fma_f32 v28, -v21, v26, v24
	v_fmac_f32_e32 v25, v27, v22
	v_fmac_f32_e32 v26, v28, v23
	v_fma_f32 v19, -v19, v25, v20
	v_fma_f32 v20, -v21, v26, v24
	v_div_fmas_f32 v19, v19, v22, v25
	s_mov_b64 vcc, s[0:1]
	v_div_fixup_f32 v4, v19, v6, v4
	v_div_fmas_f32 v6, v20, v23, v26
	v_div_fixup_f32 v6, v6, v11, v8
	v_fma_f32 v5, -v4, v7, v5
	s_waitcnt lgkmcnt(1)
	v_fma_f32 v7, -v4, v14, v9
	s_waitcnt lgkmcnt(0)
	v_mul_f32_e64 v4, v4, -v17
	v_fma_f32 v5, -v6, v10, v5
	v_fma_f32 v7, -v6, v13, v7
	v_mul_f32_e64 v6, v6, -v12
	s_waitcnt lgkmcnt(0)
	; wave barrier
	ds_write2_b32 v1, v4, v5 offset1:36
	ds_write2_b32 v1, v6, v7 offset0:72 offset1:144
	s_waitcnt lgkmcnt(0)
	; wave barrier
	s_waitcnt lgkmcnt(0)
	ds_read2_b32 v[4:5], v1 offset1:36
	ds_read2_b32 v[6:7], v15 offset0:34 offset1:70
	ds_read2_b32 v[8:9], v1 offset0:72 offset1:144
	;; [unrolled: 1-line block ×4, first 2 shown]
	ds_read_b32 v14, v15 offset:568
	ds_read_b32 v15, v18
	s_waitcnt lgkmcnt(5)
	v_div_scale_f32 v16, s[0:1], v6, v6, v4
	s_waitcnt lgkmcnt(3)
	v_div_scale_f32 v18, s[0:1], v11, v11, v8
	v_rcp_f32_e32 v19, v16
	v_rcp_f32_e32 v20, v18
	v_div_scale_f32 v17, vcc, v4, v6, v4
	v_fma_f32 v22, -v16, v19, 1.0
	v_fma_f32 v23, -v18, v20, 1.0
	v_fmac_f32_e32 v19, v22, v19
	v_div_scale_f32 v21, s[0:1], v8, v11, v8
	v_fmac_f32_e32 v20, v23, v20
	v_mul_f32_e32 v22, v17, v19
	v_mul_f32_e32 v23, v21, v20
	v_fma_f32 v24, -v16, v22, v17
	v_fma_f32 v25, -v18, v23, v21
	v_fmac_f32_e32 v22, v24, v19
	v_fmac_f32_e32 v23, v25, v20
	v_fma_f32 v16, -v16, v22, v17
	v_fma_f32 v17, -v18, v23, v21
	v_div_fmas_f32 v16, v16, v19, v22
	s_mov_b64 vcc, s[0:1]
	v_div_fixup_f32 v4, v16, v6, v4
	v_div_fmas_f32 v6, v17, v20, v23
	v_div_fixup_f32 v6, v6, v11, v8
	v_fma_f32 v5, -v4, v7, v5
	v_fma_f32 v5, -v6, v10, v5
	s_waitcnt lgkmcnt(1)
	v_fma_f32 v7, -v4, v14, v9
	s_waitcnt lgkmcnt(0)
	v_mul_f32_e64 v4, v4, -v15
	v_fma_f32 v7, -v6, v13, v7
	v_mul_f32_e64 v6, v6, -v12
	s_waitcnt lgkmcnt(0)
	; wave barrier
	ds_write2_b32 v1, v4, v5 offset1:36
	ds_write2_b32 v1, v6, v7 offset0:72 offset1:144
	v_max_u32_e32 v4, 4, v0
	s_waitcnt lgkmcnt(0)
	; wave barrier
	s_waitcnt lgkmcnt(0)
	v_lshlrev_b32_e32 v12, 2, v4
	ds_read2_b32 v[4:5], v1 offset1:36
	ds_read2_b32 v[6:7], v12 offset0:32 offset1:68
	v_min_u32_e32 v10, 27, v0
	v_lshlrev_b32_e32 v18, 2, v10
	ds_read2_b32 v[10:11], v18 offset0:4 offset1:40
	v_add_u32_e32 v15, -16, v12
	s_waitcnt lgkmcnt(1)
	v_div_scale_f32 v13, s[0:1], v6, v6, v4
	v_rcp_f32_e32 v14, v13
	v_div_scale_f32 v16, vcc, v4, v6, v4
	v_fma_f32 v8, -v13, v14, 1.0
	v_fmac_f32_e32 v14, v8, v14
	ds_read2_b32 v[8:9], v1 offset0:72 offset1:144
	v_mul_f32_e32 v17, v16, v14
	v_fma_f32 v19, -v13, v17, v16
	v_fmac_f32_e32 v17, v19, v14
	v_fma_f32 v13, -v13, v17, v16
	s_waitcnt lgkmcnt(0)
	v_div_scale_f32 v16, s[0:1], v11, v11, v8
	v_rcp_f32_e32 v19, v16
	v_div_fmas_f32 v13, v13, v14, v17
	v_div_fixup_f32 v4, v13, v6, v4
	v_fma_f32 v5, -v4, v7, v5
	v_fma_f32 v6, -v16, v19, 1.0
	v_fmac_f32_e32 v19, v6, v19
	v_div_scale_f32 v6, vcc, v8, v11, v8
	v_mul_f32_e32 v13, v6, v19
	v_fma_f32 v14, -v16, v13, v6
	v_fmac_f32_e32 v13, v14, v19
	v_fma_f32 v6, -v16, v13, v6
	v_div_fmas_f32 v6, v6, v19, v13
	v_div_fixup_f32 v6, v6, v11, v8
	ds_read_b32 v8, v12 offset:560
	ds_read2_b32 v[12:13], v18 offset0:76 offset1:148
	ds_read_b32 v11, v15
	v_fma_f32 v5, -v6, v10, v5
	s_waitcnt lgkmcnt(0)
	v_fma_f32 v7, -v4, v8, v9
	v_fma_f32 v7, -v6, v13, v7
	v_mul_f32_e64 v4, v4, -v11
	v_mul_f32_e64 v6, v6, -v12
	; wave barrier
	ds_write2_b32 v1, v4, v5 offset1:36
	ds_write2_b32 v1, v6, v7 offset0:72 offset1:144
	v_max_u32_e32 v4, 8, v0
	s_waitcnt lgkmcnt(0)
	; wave barrier
	s_waitcnt lgkmcnt(0)
	v_lshlrev_b32_e32 v12, 2, v4
	ds_read2_b32 v[4:5], v1 offset1:36
	ds_read2_b32 v[6:7], v12 offset0:28 offset1:64
	v_min_u32_e32 v10, 23, v0
	v_lshlrev_b32_e32 v18, 2, v10
	ds_read2_b32 v[10:11], v18 offset0:8 offset1:44
	v_subrev_u32_e32 v15, 32, v12
	s_waitcnt lgkmcnt(1)
	v_div_scale_f32 v13, s[0:1], v6, v6, v4
	v_rcp_f32_e32 v14, v13
	v_div_scale_f32 v16, vcc, v4, v6, v4
	v_fma_f32 v8, -v13, v14, 1.0
	v_fmac_f32_e32 v14, v8, v14
	ds_read2_b32 v[8:9], v1 offset0:72 offset1:144
	v_mul_f32_e32 v17, v16, v14
	v_fma_f32 v19, -v13, v17, v16
	v_fmac_f32_e32 v17, v19, v14
	v_fma_f32 v13, -v13, v17, v16
	s_waitcnt lgkmcnt(0)
	v_div_scale_f32 v16, s[0:1], v11, v11, v8
	v_rcp_f32_e32 v19, v16
	v_div_fmas_f32 v13, v13, v14, v17
	v_div_fixup_f32 v4, v13, v6, v4
	v_fma_f32 v5, -v4, v7, v5
	v_fma_f32 v6, -v16, v19, 1.0
	v_fmac_f32_e32 v19, v6, v19
	v_div_scale_f32 v6, vcc, v8, v11, v8
	v_mul_f32_e32 v13, v6, v19
	v_fma_f32 v14, -v16, v13, v6
	v_fmac_f32_e32 v13, v14, v19
	v_fma_f32 v6, -v16, v13, v6
	v_div_fmas_f32 v6, v6, v19, v13
	v_div_fixup_f32 v6, v6, v11, v8
	ds_read_b32 v8, v12 offset:544
	ds_read2_b32 v[12:13], v18 offset0:80 offset1:152
	ds_read_b32 v11, v15
	v_fma_f32 v5, -v6, v10, v5
	v_cmp_gt_u32_e32 vcc, 16, v0
	s_waitcnt lgkmcnt(2)
	v_fma_f32 v7, -v4, v8, v9
	s_waitcnt lgkmcnt(1)
	v_fma_f32 v7, -v6, v13, v7
	s_waitcnt lgkmcnt(0)
	v_mul_f32_e64 v4, v4, -v11
	v_mul_f32_e64 v6, v6, -v12
	s_waitcnt lgkmcnt(0)
	; wave barrier
	ds_write2_b32 v1, v4, v5 offset1:36
	ds_write2_b32 v1, v6, v7 offset0:72 offset1:144
	s_waitcnt lgkmcnt(0)
	; wave barrier
	s_waitcnt lgkmcnt(0)
	s_and_saveexec_b64 s[0:1], vcc
	s_cbranch_execz .LBB4_2
; %bb.1:
	v_add_u32_e32 v4, 0x120, v1
	v_add_u32_e32 v0, 0x90, v1
	ds_read_b32 v8, v4
	ds_read_b32 v9, v1 offset:64
	ds_read2_b32 v[4:5], v0 offset1:16
	v_add_u32_e32 v6, 0x240, v1
	s_waitcnt lgkmcnt(1)
	v_mul_f32_e32 v0, v8, v9
	s_waitcnt lgkmcnt(0)
	v_fma_f32 v0, v5, v4, -v0
	v_div_scale_f32 v10, s[2:3], v0, v0, 1.0
	v_rcp_f32_e32 v11, v10
	v_div_scale_f32 v12, vcc, 1.0, v0, 1.0
	v_fma_f32 v7, -v10, v11, 1.0
	v_fmac_f32_e32 v11, v7, v11
	v_mul_f32_e32 v13, v12, v11
	v_fma_f32 v7, -v10, v13, v12
	v_fmac_f32_e32 v13, v7, v11
	ds_read2_b32 v[6:7], v6 offset1:16
	v_fma_f32 v10, -v10, v13, v12
	v_div_fmas_f32 v10, v10, v11, v13
	v_div_fixup_f32 v0, v10, v0, 1.0
	s_waitcnt lgkmcnt(0)
	v_mul_f32_e32 v8, v8, v7
	v_fma_f32 v5, v5, v6, -v8
	v_mul_f32_e32 v6, v9, v6
	v_fma_f32 v4, v4, v7, -v6
	v_mul_f32_e32 v5, v0, v5
	v_mul_f32_e32 v0, v0, v4
	ds_write2_b32 v1, v5, v0 offset0:108 offset1:124
.LBB4_2:
	s_or_b64 exec, exec, s[0:1]
	s_waitcnt lgkmcnt(0)
	; wave barrier
	s_waitcnt lgkmcnt(0)
	ds_read_b32 v0, v1 offset:432
	s_waitcnt lgkmcnt(0)
	global_store_dword v[2:3], v0, off
	s_endpgm
	.section	.rodata,"a",@progbits
	.p2align	6, 0x0
	.amdhsa_kernel _ZN9rocsparseL49gtsv_nopivot_strided_batch_pcr_pow2_shared_kernelILj32EfEEviiiPKT0_S3_S3_PS1_
		.amdhsa_group_segment_fixed_size 708
		.amdhsa_private_segment_fixed_size 0
		.amdhsa_kernarg_size 48
		.amdhsa_user_sgpr_count 6
		.amdhsa_user_sgpr_private_segment_buffer 1
		.amdhsa_user_sgpr_dispatch_ptr 0
		.amdhsa_user_sgpr_queue_ptr 0
		.amdhsa_user_sgpr_kernarg_segment_ptr 1
		.amdhsa_user_sgpr_dispatch_id 0
		.amdhsa_user_sgpr_flat_scratch_init 0
		.amdhsa_user_sgpr_kernarg_preload_length 0
		.amdhsa_user_sgpr_kernarg_preload_offset 0
		.amdhsa_user_sgpr_private_segment_size 0
		.amdhsa_uses_dynamic_stack 0
		.amdhsa_system_sgpr_private_segment_wavefront_offset 0
		.amdhsa_system_sgpr_workgroup_id_x 1
		.amdhsa_system_sgpr_workgroup_id_y 0
		.amdhsa_system_sgpr_workgroup_id_z 0
		.amdhsa_system_sgpr_workgroup_info 0
		.amdhsa_system_vgpr_workitem_id 0
		.amdhsa_next_free_vgpr 29
		.amdhsa_next_free_sgpr 16
		.amdhsa_accum_offset 32
		.amdhsa_reserve_vcc 1
		.amdhsa_reserve_flat_scratch 0
		.amdhsa_float_round_mode_32 0
		.amdhsa_float_round_mode_16_64 0
		.amdhsa_float_denorm_mode_32 3
		.amdhsa_float_denorm_mode_16_64 3
		.amdhsa_dx10_clamp 1
		.amdhsa_ieee_mode 1
		.amdhsa_fp16_overflow 0
		.amdhsa_tg_split 0
		.amdhsa_exception_fp_ieee_invalid_op 0
		.amdhsa_exception_fp_denorm_src 0
		.amdhsa_exception_fp_ieee_div_zero 0
		.amdhsa_exception_fp_ieee_overflow 0
		.amdhsa_exception_fp_ieee_underflow 0
		.amdhsa_exception_fp_ieee_inexact 0
		.amdhsa_exception_int_div_zero 0
	.end_amdhsa_kernel
	.section	.text._ZN9rocsparseL49gtsv_nopivot_strided_batch_pcr_pow2_shared_kernelILj32EfEEviiiPKT0_S3_S3_PS1_,"axG",@progbits,_ZN9rocsparseL49gtsv_nopivot_strided_batch_pcr_pow2_shared_kernelILj32EfEEviiiPKT0_S3_S3_PS1_,comdat
.Lfunc_end4:
	.size	_ZN9rocsparseL49gtsv_nopivot_strided_batch_pcr_pow2_shared_kernelILj32EfEEviiiPKT0_S3_S3_PS1_, .Lfunc_end4-_ZN9rocsparseL49gtsv_nopivot_strided_batch_pcr_pow2_shared_kernelILj32EfEEviiiPKT0_S3_S3_PS1_
                                        ; -- End function
	.section	.AMDGPU.csdata,"",@progbits
; Kernel info:
; codeLenInByte = 1648
; NumSgprs: 20
; NumVgprs: 29
; NumAgprs: 0
; TotalNumVgprs: 29
; ScratchSize: 0
; MemoryBound: 0
; FloatMode: 240
; IeeeMode: 1
; LDSByteSize: 708 bytes/workgroup (compile time only)
; SGPRBlocks: 2
; VGPRBlocks: 3
; NumSGPRsForWavesPerEU: 20
; NumVGPRsForWavesPerEU: 29
; AccumOffset: 32
; Occupancy: 8
; WaveLimiterHint : 0
; COMPUTE_PGM_RSRC2:SCRATCH_EN: 0
; COMPUTE_PGM_RSRC2:USER_SGPR: 6
; COMPUTE_PGM_RSRC2:TRAP_HANDLER: 0
; COMPUTE_PGM_RSRC2:TGID_X_EN: 1
; COMPUTE_PGM_RSRC2:TGID_Y_EN: 0
; COMPUTE_PGM_RSRC2:TGID_Z_EN: 0
; COMPUTE_PGM_RSRC2:TIDIG_COMP_CNT: 0
; COMPUTE_PGM_RSRC3_GFX90A:ACCUM_OFFSET: 7
; COMPUTE_PGM_RSRC3_GFX90A:TG_SPLIT: 0
	.section	.text._ZN9rocsparseL49gtsv_nopivot_strided_batch_pcr_pow2_shared_kernelILj64EfEEviiiPKT0_S3_S3_PS1_,"axG",@progbits,_ZN9rocsparseL49gtsv_nopivot_strided_batch_pcr_pow2_shared_kernelILj64EfEEviiiPKT0_S3_S3_PS1_,comdat
	.globl	_ZN9rocsparseL49gtsv_nopivot_strided_batch_pcr_pow2_shared_kernelILj64EfEEviiiPKT0_S3_S3_PS1_ ; -- Begin function _ZN9rocsparseL49gtsv_nopivot_strided_batch_pcr_pow2_shared_kernelILj64EfEEviiiPKT0_S3_S3_PS1_
	.p2align	8
	.type	_ZN9rocsparseL49gtsv_nopivot_strided_batch_pcr_pow2_shared_kernelILj64EfEEviiiPKT0_S3_S3_PS1_,@function
_ZN9rocsparseL49gtsv_nopivot_strided_batch_pcr_pow2_shared_kernelILj64EfEEviiiPKT0_S3_S3_PS1_: ; @_ZN9rocsparseL49gtsv_nopivot_strided_batch_pcr_pow2_shared_kernelILj64EfEEviiiPKT0_S3_S3_PS1_
; %bb.0:
	s_load_dword s0, s[4:5], 0x8
	s_load_dwordx8 s[8:15], s[4:5], 0x10
	v_min_u32_e32 v8, 62, v0
	v_max_u32_e32 v9, 1, v0
	v_lshlrev_b32_e32 v15, 2, v9
	s_waitcnt lgkmcnt(0)
	s_mul_i32 s6, s6, s0
	v_add_u32_e32 v2, s6, v0
	v_ashrrev_i32_e32 v3, 31, v2
	v_lshlrev_b64 v[2:3], 2, v[2:3]
	v_mov_b32_e32 v1, s9
	v_add_co_u32_e32 v4, vcc, s8, v2
	v_addc_co_u32_e32 v5, vcc, v1, v3, vcc
	global_load_dword v6, v[4:5], off
	v_mov_b32_e32 v1, s11
	v_add_co_u32_e32 v4, vcc, s10, v2
	v_addc_co_u32_e32 v5, vcc, v1, v3, vcc
	global_load_dword v7, v[4:5], off
	v_mov_b32_e32 v1, s13
	v_add_co_u32_e32 v4, vcc, s12, v2
	v_addc_co_u32_e32 v5, vcc, v1, v3, vcc
	v_mov_b32_e32 v1, s15
	v_add_co_u32_e32 v2, vcc, s14, v2
	v_addc_co_u32_e32 v3, vcc, v1, v3, vcc
	global_load_dword v4, v[4:5], off
	v_lshlrev_b32_e32 v12, 2, v8
	global_load_dword v5, v[2:3], off
	v_lshlrev_b32_e32 v1, 2, v0
	v_min_u32_e32 v10, 61, v0
	v_max_u32_e32 v11, 2, v0
	v_add_u32_e32 v18, -4, v15
	v_add_u32_e32 v13, 0x200, v12
	v_add_u32_e32 v14, 0x200, v1
	v_lshlrev_b32_e32 v16, 2, v11
	v_lshlrev_b32_e32 v17, 2, v10
	v_add_u32_e32 v19, -8, v16
	s_waitcnt vmcnt(2)
	ds_write2_b32 v1, v6, v7 offset1:68
	s_waitcnt vmcnt(0)
	ds_write2_b32 v14, v4, v5 offset0:8 offset1:144
	s_waitcnt lgkmcnt(0)
	; wave barrier
	s_waitcnt lgkmcnt(0)
	ds_read2_b32 v[4:5], v1 offset1:68
	ds_read2_b32 v[6:7], v15 offset0:67 offset1:135
	ds_read2_b32 v[8:9], v14 offset0:8 offset1:144
	;; [unrolled: 1-line block ×4, first 2 shown]
	ds_read_b32 v15, v15 offset:1084
	ds_read_b32 v18, v18
	s_waitcnt lgkmcnt(5)
	v_div_scale_f32 v20, s[0:1], v6, v6, v4
	s_waitcnt lgkmcnt(3)
	v_div_scale_f32 v22, s[0:1], v11, v11, v8
	v_rcp_f32_e32 v23, v20
	v_rcp_f32_e32 v24, v22
	v_div_scale_f32 v21, vcc, v4, v6, v4
	v_fma_f32 v26, -v20, v23, 1.0
	v_fma_f32 v27, -v22, v24, 1.0
	v_fmac_f32_e32 v23, v26, v23
	v_div_scale_f32 v25, s[0:1], v8, v11, v8
	v_fmac_f32_e32 v24, v27, v24
	v_mul_f32_e32 v26, v21, v23
	v_mul_f32_e32 v27, v25, v24
	v_fma_f32 v28, -v20, v26, v21
	v_fma_f32 v29, -v22, v27, v25
	v_fmac_f32_e32 v26, v28, v23
	v_fmac_f32_e32 v27, v29, v24
	v_fma_f32 v20, -v20, v26, v21
	v_fma_f32 v21, -v22, v27, v25
	v_div_fmas_f32 v20, v20, v23, v26
	s_mov_b64 vcc, s[0:1]
	v_div_fixup_f32 v4, v20, v6, v4
	v_div_fmas_f32 v6, v21, v24, v27
	v_div_fixup_f32 v6, v6, v11, v8
	v_fma_f32 v5, -v4, v7, v5
	s_waitcnt lgkmcnt(1)
	v_fma_f32 v7, -v4, v15, v9
	s_waitcnt lgkmcnt(0)
	v_mul_f32_e64 v4, v4, -v18
	v_fma_f32 v5, -v6, v10, v5
	v_fma_f32 v7, -v6, v13, v7
	v_mul_f32_e64 v6, v6, -v12
	s_waitcnt lgkmcnt(0)
	; wave barrier
	ds_write2_b32 v1, v4, v5 offset1:68
	ds_write2_b32 v14, v6, v7 offset0:8 offset1:144
	s_waitcnt lgkmcnt(0)
	; wave barrier
	s_waitcnt lgkmcnt(0)
	ds_read2_b32 v[4:5], v1 offset1:68
	ds_read2_b32 v[6:7], v16 offset0:66 offset1:134
	ds_read2_b32 v[8:9], v14 offset0:8 offset1:144
	;; [unrolled: 1-line block ×3, first 2 shown]
	v_add_u32_e32 v12, 0x200, v17
	s_waitcnt lgkmcnt(2)
	v_div_scale_f32 v13, s[0:1], v6, v6, v4
	s_waitcnt lgkmcnt(0)
	v_div_scale_f32 v17, s[0:1], v11, v11, v8
	v_rcp_f32_e32 v18, v13
	v_rcp_f32_e32 v20, v17
	v_div_scale_f32 v15, vcc, v4, v6, v4
	v_fma_f32 v22, -v13, v18, 1.0
	v_fma_f32 v23, -v17, v20, 1.0
	v_fmac_f32_e32 v18, v22, v18
	v_div_scale_f32 v21, s[0:1], v8, v11, v8
	v_fmac_f32_e32 v20, v23, v20
	v_mul_f32_e32 v22, v15, v18
	v_mul_f32_e32 v23, v21, v20
	v_fma_f32 v24, -v13, v22, v15
	v_fma_f32 v25, -v17, v23, v21
	v_fmac_f32_e32 v22, v24, v18
	v_fmac_f32_e32 v23, v25, v20
	v_fma_f32 v13, -v13, v22, v15
	v_fma_f32 v15, -v17, v23, v21
	v_div_fmas_f32 v13, v13, v18, v22
	s_mov_b64 vcc, s[0:1]
	v_div_fixup_f32 v4, v13, v6, v4
	v_div_fmas_f32 v6, v15, v20, v23
	v_div_fixup_f32 v6, v6, v11, v8
	ds_read_b32 v8, v16 offset:1080
	ds_read2_b32 v[12:13], v12 offset0:10 offset1:146
	ds_read_b32 v11, v19
	v_fma_f32 v5, -v4, v7, v5
	v_fma_f32 v5, -v6, v10, v5
	s_waitcnt lgkmcnt(2)
	v_fma_f32 v7, -v4, v8, v9
	s_waitcnt lgkmcnt(1)
	;; [unrolled: 2-line block ×3, first 2 shown]
	v_mul_f32_e64 v4, v4, -v11
	v_mul_f32_e64 v6, v6, -v12
	s_waitcnt lgkmcnt(0)
	; wave barrier
	ds_write2_b32 v1, v4, v5 offset1:68
	ds_write2_b32 v14, v6, v7 offset0:8 offset1:144
	v_max_u32_e32 v4, 4, v0
	s_waitcnt lgkmcnt(0)
	; wave barrier
	s_waitcnt lgkmcnt(0)
	v_lshlrev_b32_e32 v12, 2, v4
	ds_read2_b32 v[4:5], v1 offset1:68
	ds_read2_b32 v[6:7], v12 offset0:64 offset1:132
	v_min_u32_e32 v10, 59, v0
	v_lshlrev_b32_e32 v19, 2, v10
	ds_read2_b32 v[10:11], v19 offset0:4 offset1:72
	v_add_u32_e32 v16, -16, v12
	s_waitcnt lgkmcnt(1)
	v_div_scale_f32 v13, s[0:1], v6, v6, v4
	v_rcp_f32_e32 v15, v13
	v_div_scale_f32 v17, vcc, v4, v6, v4
	v_fma_f32 v8, -v13, v15, 1.0
	v_fmac_f32_e32 v15, v8, v15
	ds_read2_b32 v[8:9], v14 offset0:8 offset1:144
	v_mul_f32_e32 v18, v17, v15
	v_fma_f32 v20, -v13, v18, v17
	v_fmac_f32_e32 v18, v20, v15
	v_fma_f32 v13, -v13, v18, v17
	s_waitcnt lgkmcnt(0)
	v_div_scale_f32 v17, s[0:1], v11, v11, v8
	v_rcp_f32_e32 v20, v17
	v_div_fmas_f32 v13, v13, v15, v18
	v_div_fixup_f32 v4, v13, v6, v4
	v_fma_f32 v5, -v4, v7, v5
	v_fma_f32 v6, -v17, v20, 1.0
	v_fmac_f32_e32 v20, v6, v20
	v_div_scale_f32 v6, vcc, v8, v11, v8
	v_mul_f32_e32 v13, v6, v20
	v_fma_f32 v15, -v17, v13, v6
	v_fmac_f32_e32 v13, v15, v20
	v_fma_f32 v6, -v17, v13, v6
	v_div_fmas_f32 v6, v6, v20, v13
	v_div_fixup_f32 v6, v6, v11, v8
	v_add_u32_e32 v8, 0x200, v19
	ds_read_b32 v11, v12 offset:1072
	ds_read2_b32 v[12:13], v8 offset0:12 offset1:148
	ds_read_b32 v8, v16
	v_fma_f32 v5, -v6, v10, v5
	s_waitcnt lgkmcnt(0)
	v_fma_f32 v7, -v4, v11, v9
	v_fma_f32 v7, -v6, v13, v7
	v_mul_f32_e64 v4, v4, -v8
	v_mul_f32_e64 v6, v6, -v12
	; wave barrier
	ds_write2_b32 v1, v4, v5 offset1:68
	ds_write2_b32 v14, v6, v7 offset0:8 offset1:144
	v_max_u32_e32 v4, 8, v0
	s_waitcnt lgkmcnt(0)
	; wave barrier
	s_waitcnt lgkmcnt(0)
	v_lshlrev_b32_e32 v12, 2, v4
	ds_read2_b32 v[4:5], v1 offset1:68
	ds_read2_b32 v[6:7], v12 offset0:60 offset1:128
	v_min_u32_e32 v10, 55, v0
	v_lshlrev_b32_e32 v19, 2, v10
	ds_read2_b32 v[10:11], v19 offset0:8 offset1:76
	v_subrev_u32_e32 v16, 32, v12
	s_waitcnt lgkmcnt(1)
	v_div_scale_f32 v13, s[0:1], v6, v6, v4
	v_rcp_f32_e32 v15, v13
	v_div_scale_f32 v17, vcc, v4, v6, v4
	v_fma_f32 v8, -v13, v15, 1.0
	v_fmac_f32_e32 v15, v8, v15
	ds_read2_b32 v[8:9], v14 offset0:8 offset1:144
	v_mul_f32_e32 v18, v17, v15
	v_fma_f32 v20, -v13, v18, v17
	v_fmac_f32_e32 v18, v20, v15
	v_fma_f32 v13, -v13, v18, v17
	s_waitcnt lgkmcnt(0)
	v_div_scale_f32 v17, s[0:1], v11, v11, v8
	v_rcp_f32_e32 v20, v17
	v_div_fmas_f32 v13, v13, v15, v18
	v_div_fixup_f32 v4, v13, v6, v4
	v_fma_f32 v5, -v4, v7, v5
	v_fma_f32 v6, -v17, v20, 1.0
	v_fmac_f32_e32 v20, v6, v20
	v_div_scale_f32 v6, vcc, v8, v11, v8
	v_mul_f32_e32 v13, v6, v20
	v_fma_f32 v15, -v17, v13, v6
	v_fmac_f32_e32 v13, v15, v20
	v_fma_f32 v6, -v17, v13, v6
	v_div_fmas_f32 v6, v6, v20, v13
	v_div_fixup_f32 v6, v6, v11, v8
	v_add_u32_e32 v8, 0x200, v19
	ds_read_b32 v11, v12 offset:1056
	ds_read2_b32 v[12:13], v8 offset0:16 offset1:152
	ds_read_b32 v8, v16
	v_fma_f32 v5, -v6, v10, v5
	s_waitcnt lgkmcnt(0)
	v_fma_f32 v7, -v4, v11, v9
	v_fma_f32 v7, -v6, v13, v7
	v_mul_f32_e64 v4, v4, -v8
	v_mul_f32_e64 v6, v6, -v12
	; wave barrier
	ds_write2_b32 v1, v4, v5 offset1:68
	ds_write2_b32 v14, v6, v7 offset0:8 offset1:144
	v_max_u32_e32 v4, 16, v0
	s_waitcnt lgkmcnt(0)
	; wave barrier
	s_waitcnt lgkmcnt(0)
	v_lshlrev_b32_e32 v12, 2, v4
	ds_read2_b32 v[4:5], v1 offset1:68
	ds_read2_b32 v[6:7], v12 offset0:52 offset1:120
	v_min_u32_e32 v10, 47, v0
	v_lshlrev_b32_e32 v19, 2, v10
	ds_read2_b32 v[10:11], v19 offset0:16 offset1:84
	v_subrev_u32_e32 v16, 64, v12
	s_waitcnt lgkmcnt(1)
	v_div_scale_f32 v13, s[0:1], v6, v6, v4
	v_rcp_f32_e32 v15, v13
	v_div_scale_f32 v17, vcc, v4, v6, v4
	v_fma_f32 v8, -v13, v15, 1.0
	v_fmac_f32_e32 v15, v8, v15
	ds_read2_b32 v[8:9], v14 offset0:8 offset1:144
	v_mul_f32_e32 v18, v17, v15
	v_fma_f32 v20, -v13, v18, v17
	v_fmac_f32_e32 v18, v20, v15
	v_fma_f32 v13, -v13, v18, v17
	s_waitcnt lgkmcnt(0)
	v_div_scale_f32 v17, s[0:1], v11, v11, v8
	v_rcp_f32_e32 v20, v17
	v_div_fmas_f32 v13, v13, v15, v18
	v_div_fixup_f32 v4, v13, v6, v4
	v_fma_f32 v5, -v4, v7, v5
	v_fma_f32 v6, -v17, v20, 1.0
	v_fmac_f32_e32 v20, v6, v20
	v_div_scale_f32 v6, vcc, v8, v11, v8
	v_mul_f32_e32 v13, v6, v20
	v_fma_f32 v15, -v17, v13, v6
	v_fmac_f32_e32 v13, v15, v20
	v_fma_f32 v6, -v17, v13, v6
	v_div_fmas_f32 v6, v6, v20, v13
	v_div_fixup_f32 v6, v6, v11, v8
	v_add_u32_e32 v8, 0x200, v19
	ds_read_b32 v11, v12 offset:1024
	ds_read2_b32 v[12:13], v8 offset0:24 offset1:160
	ds_read_b32 v8, v16
	v_fma_f32 v5, -v6, v10, v5
	v_cmp_gt_u32_e32 vcc, 32, v0
	s_waitcnt lgkmcnt(2)
	v_fma_f32 v7, -v4, v11, v9
	s_waitcnt lgkmcnt(1)
	v_fma_f32 v7, -v6, v13, v7
	s_waitcnt lgkmcnt(0)
	v_mul_f32_e64 v4, v4, -v8
	v_mul_f32_e64 v6, v6, -v12
	s_waitcnt lgkmcnt(0)
	; wave barrier
	ds_write2_b32 v1, v4, v5 offset1:68
	ds_write2_b32 v14, v6, v7 offset0:8 offset1:144
	s_waitcnt lgkmcnt(0)
	; wave barrier
	s_waitcnt lgkmcnt(0)
	s_and_saveexec_b64 s[0:1], vcc
	s_cbranch_execz .LBB5_2
; %bb.1:
	v_add_u32_e32 v4, 0x220, v1
	v_add_u32_e32 v0, 0x110, v1
	ds_read_b32 v8, v4
	ds_read_b32 v9, v1 offset:128
	ds_read2_b32 v[4:5], v0 offset1:32
	v_add_u32_e32 v6, 0x440, v1
	s_waitcnt lgkmcnt(1)
	v_mul_f32_e32 v0, v8, v9
	s_waitcnt lgkmcnt(0)
	v_fma_f32 v0, v5, v4, -v0
	v_div_scale_f32 v10, s[2:3], v0, v0, 1.0
	v_rcp_f32_e32 v11, v10
	v_div_scale_f32 v12, vcc, 1.0, v0, 1.0
	v_fma_f32 v7, -v10, v11, 1.0
	v_fmac_f32_e32 v11, v7, v11
	v_mul_f32_e32 v13, v12, v11
	v_fma_f32 v7, -v10, v13, v12
	v_fmac_f32_e32 v13, v7, v11
	ds_read2_b32 v[6:7], v6 offset1:32
	v_fma_f32 v10, -v10, v13, v12
	v_div_fmas_f32 v10, v10, v11, v13
	v_div_fixup_f32 v0, v10, v0, 1.0
	s_waitcnt lgkmcnt(0)
	v_mul_f32_e32 v8, v8, v7
	v_fma_f32 v5, v5, v6, -v8
	v_mul_f32_e32 v6, v9, v6
	v_fma_f32 v4, v4, v7, -v6
	v_mul_f32_e32 v5, v0, v5
	v_mul_f32_e32 v0, v0, v4
	ds_write2_b32 v1, v5, v0 offset0:204 offset1:236
.LBB5_2:
	s_or_b64 exec, exec, s[0:1]
	s_waitcnt lgkmcnt(0)
	; wave barrier
	s_waitcnt lgkmcnt(0)
	ds_read_b32 v0, v1 offset:816
	s_waitcnt lgkmcnt(0)
	global_store_dword v[2:3], v0, off
	s_endpgm
	.section	.rodata,"a",@progbits
	.p2align	6, 0x0
	.amdhsa_kernel _ZN9rocsparseL49gtsv_nopivot_strided_batch_pcr_pow2_shared_kernelILj64EfEEviiiPKT0_S3_S3_PS1_
		.amdhsa_group_segment_fixed_size 1348
		.amdhsa_private_segment_fixed_size 0
		.amdhsa_kernarg_size 48
		.amdhsa_user_sgpr_count 6
		.amdhsa_user_sgpr_private_segment_buffer 1
		.amdhsa_user_sgpr_dispatch_ptr 0
		.amdhsa_user_sgpr_queue_ptr 0
		.amdhsa_user_sgpr_kernarg_segment_ptr 1
		.amdhsa_user_sgpr_dispatch_id 0
		.amdhsa_user_sgpr_flat_scratch_init 0
		.amdhsa_user_sgpr_kernarg_preload_length 0
		.amdhsa_user_sgpr_kernarg_preload_offset 0
		.amdhsa_user_sgpr_private_segment_size 0
		.amdhsa_uses_dynamic_stack 0
		.amdhsa_system_sgpr_private_segment_wavefront_offset 0
		.amdhsa_system_sgpr_workgroup_id_x 1
		.amdhsa_system_sgpr_workgroup_id_y 0
		.amdhsa_system_sgpr_workgroup_id_z 0
		.amdhsa_system_sgpr_workgroup_info 0
		.amdhsa_system_vgpr_workitem_id 0
		.amdhsa_next_free_vgpr 30
		.amdhsa_next_free_sgpr 16
		.amdhsa_accum_offset 32
		.amdhsa_reserve_vcc 1
		.amdhsa_reserve_flat_scratch 0
		.amdhsa_float_round_mode_32 0
		.amdhsa_float_round_mode_16_64 0
		.amdhsa_float_denorm_mode_32 3
		.amdhsa_float_denorm_mode_16_64 3
		.amdhsa_dx10_clamp 1
		.amdhsa_ieee_mode 1
		.amdhsa_fp16_overflow 0
		.amdhsa_tg_split 0
		.amdhsa_exception_fp_ieee_invalid_op 0
		.amdhsa_exception_fp_denorm_src 0
		.amdhsa_exception_fp_ieee_div_zero 0
		.amdhsa_exception_fp_ieee_overflow 0
		.amdhsa_exception_fp_ieee_underflow 0
		.amdhsa_exception_fp_ieee_inexact 0
		.amdhsa_exception_int_div_zero 0
	.end_amdhsa_kernel
	.section	.text._ZN9rocsparseL49gtsv_nopivot_strided_batch_pcr_pow2_shared_kernelILj64EfEEviiiPKT0_S3_S3_PS1_,"axG",@progbits,_ZN9rocsparseL49gtsv_nopivot_strided_batch_pcr_pow2_shared_kernelILj64EfEEviiiPKT0_S3_S3_PS1_,comdat
.Lfunc_end5:
	.size	_ZN9rocsparseL49gtsv_nopivot_strided_batch_pcr_pow2_shared_kernelILj64EfEEviiiPKT0_S3_S3_PS1_, .Lfunc_end5-_ZN9rocsparseL49gtsv_nopivot_strided_batch_pcr_pow2_shared_kernelILj64EfEEviiiPKT0_S3_S3_PS1_
                                        ; -- End function
	.section	.AMDGPU.csdata,"",@progbits
; Kernel info:
; codeLenInByte = 2004
; NumSgprs: 20
; NumVgprs: 30
; NumAgprs: 0
; TotalNumVgprs: 30
; ScratchSize: 0
; MemoryBound: 0
; FloatMode: 240
; IeeeMode: 1
; LDSByteSize: 1348 bytes/workgroup (compile time only)
; SGPRBlocks: 2
; VGPRBlocks: 3
; NumSGPRsForWavesPerEU: 20
; NumVGPRsForWavesPerEU: 30
; AccumOffset: 32
; Occupancy: 8
; WaveLimiterHint : 0
; COMPUTE_PGM_RSRC2:SCRATCH_EN: 0
; COMPUTE_PGM_RSRC2:USER_SGPR: 6
; COMPUTE_PGM_RSRC2:TRAP_HANDLER: 0
; COMPUTE_PGM_RSRC2:TGID_X_EN: 1
; COMPUTE_PGM_RSRC2:TGID_Y_EN: 0
; COMPUTE_PGM_RSRC2:TGID_Z_EN: 0
; COMPUTE_PGM_RSRC2:TIDIG_COMP_CNT: 0
; COMPUTE_PGM_RSRC3_GFX90A:ACCUM_OFFSET: 7
; COMPUTE_PGM_RSRC3_GFX90A:TG_SPLIT: 0
	.section	.text._ZN9rocsparseL51gtsv_nopivot_strided_batch_crpcr_pow2_shared_kernelILj64ELj64EfEEviiiPKT1_S3_S3_PS1_,"axG",@progbits,_ZN9rocsparseL51gtsv_nopivot_strided_batch_crpcr_pow2_shared_kernelILj64ELj64EfEEviiiPKT1_S3_S3_PS1_,comdat
	.globl	_ZN9rocsparseL51gtsv_nopivot_strided_batch_crpcr_pow2_shared_kernelILj64ELj64EfEEviiiPKT1_S3_S3_PS1_ ; -- Begin function _ZN9rocsparseL51gtsv_nopivot_strided_batch_crpcr_pow2_shared_kernelILj64ELj64EfEEviiiPKT1_S3_S3_PS1_
	.p2align	8
	.type	_ZN9rocsparseL51gtsv_nopivot_strided_batch_crpcr_pow2_shared_kernelILj64ELj64EfEEviiiPKT1_S3_S3_PS1_,@function
_ZN9rocsparseL51gtsv_nopivot_strided_batch_crpcr_pow2_shared_kernelILj64ELj64EfEEviiiPKT1_S3_S3_PS1_: ; @_ZN9rocsparseL51gtsv_nopivot_strided_batch_crpcr_pow2_shared_kernelILj64ELj64EfEEviiiPKT1_S3_S3_PS1_
; %bb.0:
	s_load_dword s0, s[4:5], 0x8
	s_load_dwordx8 s[8:15], s[4:5], 0x10
	s_waitcnt lgkmcnt(0)
	s_mul_i32 s6, s6, s0
	v_add_u32_e32 v2, s6, v0
	v_ashrrev_i32_e32 v3, 31, v2
	v_lshlrev_b64 v[4:5], 2, v[2:3]
	v_mov_b32_e32 v1, s9
	v_add_co_u32_e32 v6, vcc, s8, v4
	v_add_u32_e32 v2, 64, v2
	v_mov_b32_e32 v3, 0
	v_addc_co_u32_e32 v7, vcc, v1, v5, vcc
	v_lshlrev_b64 v[8:9], 2, v[2:3]
	v_add_co_u32_e32 v2, vcc, s8, v8
	v_addc_co_u32_e32 v3, vcc, v1, v9, vcc
	global_load_dword v10, v[6:7], off
	global_load_dword v11, v[2:3], off
	v_mov_b32_e32 v1, s11
	v_add_co_u32_e32 v2, vcc, s10, v4
	v_addc_co_u32_e32 v3, vcc, v1, v5, vcc
	v_add_co_u32_e32 v6, vcc, s10, v8
	v_addc_co_u32_e32 v7, vcc, v1, v9, vcc
	global_load_dword v12, v[2:3], off
	global_load_dword v13, v[6:7], off
	v_mov_b32_e32 v1, s13
	v_add_co_u32_e32 v2, vcc, s12, v4
	v_addc_co_u32_e32 v3, vcc, v1, v5, vcc
	;; [unrolled: 7-line block ×3, first 2 shown]
	v_add_co_u32_e32 v4, vcc, s14, v8
	v_addc_co_u32_e32 v5, vcc, v1, v9, vcc
	global_load_dword v6, v[2:3], off
	global_load_dword v7, v[4:5], off
	v_lshlrev_b32_e32 v1, 2, v0
	v_cmp_gt_u32_e64 s[0:1], 64, v0
	v_lshlrev_b32_e32 v8, 1, v0
	s_waitcnt vmcnt(6)
	ds_write2st64_b32 v1, v10, v11 offset1:1
	s_waitcnt vmcnt(4)
	ds_write2st64_b32 v1, v12, v13 offset0:2 offset1:3
	s_waitcnt vmcnt(2)
	ds_write2st64_b32 v1, v14, v15 offset0:4 offset1:5
	;; [unrolled: 2-line block ×3, first 2 shown]
	s_waitcnt lgkmcnt(0)
	; wave barrier
	s_waitcnt lgkmcnt(0)
	s_and_saveexec_b64 s[2:3], s[0:1]
	s_cbranch_execz .LBB6_2
; %bb.1:
	v_or_b32_e32 v6, 0x200, v1
	v_or_b32_e32 v7, 0x400, v1
	v_add_u32_e32 v20, v1, v1
	v_add_u32_e32 v21, v6, v1
	v_add_u32_e32 v22, v7, v1
	ds_read_b64 v[6:7], v20
	ds_read_b64 v[10:11], v21
	v_min_u32_e32 v16, 0x7d, v8
	v_or_b32_e32 v9, 0x800, v1
	v_lshlrev_b32_e32 v25, 2, v16
	v_add_u32_e32 v9, v9, v1
	s_waitcnt lgkmcnt(0)
	v_div_scale_f32 v18, s[4:5], v10, v10, v7
	v_rcp_f32_e32 v19, v18
	ds_read_b64 v[12:13], v22
	ds_read_b64 v[14:15], v9
	v_div_scale_f32 v23, vcc, v7, v10, v7
	v_fma_f32 v17, -v18, v19, 1.0
	v_fmac_f32_e32 v19, v17, v19
	ds_read2_b32 v[16:17], v25 offset0:2 offset1:130
	v_mul_f32_e32 v24, v23, v19
	v_fma_f32 v26, -v18, v24, v23
	v_fmac_f32_e32 v24, v26, v19
	v_fma_f32 v18, -v18, v24, v23
	s_waitcnt lgkmcnt(0)
	v_div_scale_f32 v23, s[4:5], v17, v17, v13
	v_rcp_f32_e32 v26, v23
	v_div_fmas_f32 v18, v18, v19, v24
	v_div_fixup_f32 v7, v18, v10, v7
	v_fma_f32 v11, -v7, v12, v11
	v_fma_f32 v10, -v23, v26, 1.0
	v_fmac_f32_e32 v26, v10, v26
	v_div_scale_f32 v10, vcc, v13, v17, v13
	v_mul_f32_e32 v18, v10, v26
	v_fma_f32 v19, -v23, v18, v10
	v_fmac_f32_e32 v18, v19, v26
	v_fma_f32 v10, -v23, v18, v10
	v_div_fmas_f32 v10, v10, v26, v18
	v_div_fixup_f32 v10, v10, v17, v13
	v_add_u32_e32 v13, 8, v25
	ds_read2st64_b32 v[18:19], v13 offset0:4 offset1:8
	v_fma_f32 v11, -v10, v16, v11
	ds_write_b32 v21, v11 offset:4
	v_fma_f32 v11, -v7, v14, v15
	v_mul_f32_e64 v6, v7, -v6
	s_waitcnt lgkmcnt(1)
	v_fma_f32 v11, -v10, v19, v11
	ds_write_b32 v20, v6 offset:4
	v_mul_f32_e64 v6, v10, -v18
	ds_write_b32 v9, v11 offset:4
	ds_write_b32 v22, v6 offset:4
.LBB6_2:
	s_or_b64 exec, exec, s[2:3]
	v_lshlrev_b32_e32 v9, 3, v0
	s_waitcnt lgkmcnt(0)
	; wave barrier
	s_waitcnt lgkmcnt(0)
	s_and_saveexec_b64 s[2:3], s[0:1]
	s_cbranch_execz .LBB6_4
; %bb.3:
	ds_read2_b32 v[6:7], v9 offset0:1 offset1:129
	v_add_u32_e32 v10, 4, v9
	ds_read2st64_b32 v[10:11], v10 offset0:4 offset1:8
	s_waitcnt lgkmcnt(1)
	ds_write2st64_b32 v1, v6, v7 offset0:10 offset1:11
	s_waitcnt lgkmcnt(1)
	ds_write2st64_b32 v1, v10, v11 offset0:12 offset1:14
.LBB6_4:
	s_or_b64 exec, exec, s[2:3]
	v_or_b32_e32 v11, 0xa00, v1
	v_or_b32_e32 v13, 0xc00, v1
	;; [unrolled: 1-line block ×4, first 2 shown]
	s_waitcnt lgkmcnt(0)
	; wave barrier
	s_waitcnt lgkmcnt(0)
                                        ; implicit-def: $vgpr15
                                        ; implicit-def: $vgpr14
                                        ; implicit-def: $vgpr6_vgpr7
	s_and_saveexec_b64 s[2:3], s[0:1]
	s_cbranch_execz .LBB6_6
; %bb.5:
	v_max_u32_e32 v6, 1, v0
	v_lshlrev_b32_e32 v6, 2, v6
	v_add_u32_e32 v16, 0xfc, v6
	ds_read2st64_b32 v[6:7], v16 offset0:9 offset1:10
	ds_read_b32 v20, v11
	ds_read_b32 v22, v13
	;; [unrolled: 1-line block ×4, first 2 shown]
	v_min_u32_e32 v14, 62, v0
	v_lshlrev_b32_e32 v14, 2, v14
	v_add_u32_e32 v18, 4, v14
	s_waitcnt lgkmcnt(3)
	v_div_scale_f32 v21, s[4:5], v7, v7, v20
	v_rcp_f32_e32 v25, v21
	ds_read2st64_b32 v[14:15], v18 offset0:10 offset1:11
	ds_read2st64_b32 v[16:17], v16 offset0:11 offset1:13
	;; [unrolled: 1-line block ×3, first 2 shown]
	v_fma_f32 v26, -v21, v25, 1.0
	v_fmac_f32_e32 v25, v26, v25
	v_div_scale_f32 v26, vcc, v20, v7, v20
	v_mul_f32_e32 v27, v26, v25
	v_fma_f32 v28, -v21, v27, v26
	v_fmac_f32_e32 v27, v28, v25
	v_fma_f32 v21, -v21, v27, v26
	s_waitcnt lgkmcnt(2)
	v_div_scale_f32 v26, s[4:5], v15, v15, v22
	v_rcp_f32_e32 v28, v26
	v_div_fmas_f32 v21, v21, v25, v27
	v_div_fixup_f32 v21, v21, v7, v20
	v_fma_f32 v7, -v26, v28, 1.0
	v_fmac_f32_e32 v28, v7, v28
	v_div_scale_f32 v7, vcc, v22, v15, v22
	v_mul_f32_e32 v20, v7, v28
	v_fma_f32 v25, -v26, v20, v7
	v_fmac_f32_e32 v20, v25, v28
	v_fma_f32 v7, -v26, v20, v7
	v_div_fmas_f32 v7, v7, v28, v20
	v_div_fixup_f32 v20, v7, v15, v22
	s_waitcnt lgkmcnt(1)
	v_fma_f32 v7, -v21, v16, v23
	v_fma_f32 v14, -v20, v14, v7
	;; [unrolled: 1-line block ×3, first 2 shown]
	s_waitcnt lgkmcnt(0)
	v_fma_f32 v15, -v20, v19, v7
	v_mov_b32_e32 v19, v6
	v_pk_mul_f32 v[6:7], v[20:21], v[18:19] neg_lo:[0,1] neg_hi:[0,1]
.LBB6_6:
	s_or_b64 exec, exec, s[2:3]
	s_waitcnt lgkmcnt(0)
	; wave barrier
	s_waitcnt lgkmcnt(0)
	s_and_saveexec_b64 s[2:3], s[0:1]
	s_cbranch_execz .LBB6_8
; %bb.7:
	ds_write_b32 v12, v14
	ds_write_b32 v10, v15
	;; [unrolled: 1-line block ×4, first 2 shown]
.LBB6_8:
	s_or_b64 exec, exec, s[2:3]
	s_waitcnt lgkmcnt(0)
	; wave barrier
	s_waitcnt lgkmcnt(0)
	s_and_saveexec_b64 s[2:3], s[0:1]
	s_cbranch_execz .LBB6_10
; %bb.9:
	v_max_u32_e32 v6, 2, v0
	v_lshlrev_b32_e32 v6, 2, v6
	v_add_u32_e32 v16, 0xf8, v6
	ds_read2st64_b32 v[6:7], v16 offset0:9 offset1:10
	ds_read_b32 v20, v11
	ds_read_b32 v22, v13
	;; [unrolled: 1-line block ×4, first 2 shown]
	v_min_u32_e32 v14, 61, v0
	v_lshlrev_b32_e32 v14, 2, v14
	v_add_u32_e32 v18, 8, v14
	s_waitcnt lgkmcnt(3)
	v_div_scale_f32 v21, s[4:5], v7, v7, v20
	v_rcp_f32_e32 v25, v21
	ds_read2st64_b32 v[14:15], v18 offset0:10 offset1:11
	ds_read2st64_b32 v[16:17], v16 offset0:11 offset1:13
	ds_read2st64_b32 v[18:19], v18 offset0:12 offset1:14
	v_fma_f32 v26, -v21, v25, 1.0
	v_fmac_f32_e32 v25, v26, v25
	v_div_scale_f32 v26, vcc, v20, v7, v20
	v_mul_f32_e32 v27, v26, v25
	v_fma_f32 v28, -v21, v27, v26
	v_fmac_f32_e32 v27, v28, v25
	v_fma_f32 v21, -v21, v27, v26
	s_waitcnt lgkmcnt(2)
	v_div_scale_f32 v26, s[4:5], v15, v15, v22
	v_rcp_f32_e32 v28, v26
	v_div_fmas_f32 v21, v21, v25, v27
	v_div_fixup_f32 v21, v21, v7, v20
	v_fma_f32 v7, -v26, v28, 1.0
	v_fmac_f32_e32 v28, v7, v28
	v_div_scale_f32 v7, vcc, v22, v15, v22
	v_mul_f32_e32 v20, v7, v28
	v_fma_f32 v25, -v26, v20, v7
	v_fmac_f32_e32 v20, v25, v28
	v_fma_f32 v7, -v26, v20, v7
	v_div_fmas_f32 v7, v7, v28, v20
	v_div_fixup_f32 v20, v7, v15, v22
	s_waitcnt lgkmcnt(1)
	v_fma_f32 v7, -v21, v16, v23
	v_fma_f32 v14, -v20, v14, v7
	;; [unrolled: 1-line block ×3, first 2 shown]
	s_waitcnt lgkmcnt(0)
	v_fma_f32 v15, -v20, v19, v7
	v_mov_b32_e32 v19, v6
	v_pk_mul_f32 v[6:7], v[20:21], v[18:19] neg_lo:[0,1] neg_hi:[0,1]
.LBB6_10:
	s_or_b64 exec, exec, s[2:3]
	s_waitcnt lgkmcnt(0)
	; wave barrier
	s_and_saveexec_b64 s[2:3], s[0:1]
	s_cbranch_execz .LBB6_12
; %bb.11:
	ds_write_b32 v12, v14
	ds_write_b32 v10, v15
	ds_write_b32 v11, v7
	ds_write_b32 v13, v6
.LBB6_12:
	s_or_b64 exec, exec, s[2:3]
	s_waitcnt lgkmcnt(0)
	; wave barrier
	s_waitcnt lgkmcnt(0)
	s_and_saveexec_b64 s[2:3], s[0:1]
	s_cbranch_execz .LBB6_14
; %bb.13:
	v_max_u32_e32 v6, 4, v0
	v_lshlrev_b32_e32 v6, 2, v6
	v_add_u32_e32 v16, 0xf0, v6
	ds_read2st64_b32 v[6:7], v16 offset0:9 offset1:10
	ds_read_b32 v20, v11
	ds_read_b32 v22, v13
	ds_read_b32 v23, v12
	ds_read_b32 v24, v10
	v_min_u32_e32 v14, 59, v0
	v_lshlrev_b32_e32 v14, 2, v14
	v_add_u32_e32 v18, 16, v14
	s_waitcnt lgkmcnt(3)
	v_div_scale_f32 v21, s[4:5], v7, v7, v20
	v_rcp_f32_e32 v25, v21
	ds_read2st64_b32 v[14:15], v18 offset0:10 offset1:11
	ds_read2st64_b32 v[16:17], v16 offset0:11 offset1:13
	;; [unrolled: 1-line block ×3, first 2 shown]
	v_fma_f32 v26, -v21, v25, 1.0
	v_fmac_f32_e32 v25, v26, v25
	v_div_scale_f32 v26, vcc, v20, v7, v20
	v_mul_f32_e32 v27, v26, v25
	v_fma_f32 v28, -v21, v27, v26
	v_fmac_f32_e32 v27, v28, v25
	v_fma_f32 v21, -v21, v27, v26
	s_waitcnt lgkmcnt(2)
	v_div_scale_f32 v26, s[4:5], v15, v15, v22
	v_rcp_f32_e32 v28, v26
	v_div_fmas_f32 v21, v21, v25, v27
	v_div_fixup_f32 v21, v21, v7, v20
	v_fma_f32 v7, -v26, v28, 1.0
	v_fmac_f32_e32 v28, v7, v28
	v_div_scale_f32 v7, vcc, v22, v15, v22
	v_mul_f32_e32 v20, v7, v28
	v_fma_f32 v25, -v26, v20, v7
	v_fmac_f32_e32 v20, v25, v28
	v_fma_f32 v7, -v26, v20, v7
	v_div_fmas_f32 v7, v7, v28, v20
	v_div_fixup_f32 v20, v7, v15, v22
	s_waitcnt lgkmcnt(1)
	v_fma_f32 v7, -v21, v16, v23
	v_fma_f32 v14, -v20, v14, v7
	;; [unrolled: 1-line block ×3, first 2 shown]
	s_waitcnt lgkmcnt(0)
	v_fma_f32 v15, -v20, v19, v7
	v_mov_b32_e32 v19, v6
	v_pk_mul_f32 v[6:7], v[20:21], v[18:19] neg_lo:[0,1] neg_hi:[0,1]
.LBB6_14:
	s_or_b64 exec, exec, s[2:3]
	s_waitcnt lgkmcnt(0)
	; wave barrier
	s_and_saveexec_b64 s[2:3], s[0:1]
	s_cbranch_execz .LBB6_16
; %bb.15:
	ds_write_b32 v12, v14
	ds_write_b32 v10, v15
	;; [unrolled: 1-line block ×4, first 2 shown]
.LBB6_16:
	s_or_b64 exec, exec, s[2:3]
	s_waitcnt lgkmcnt(0)
	; wave barrier
	s_waitcnt lgkmcnt(0)
	s_and_saveexec_b64 s[2:3], s[0:1]
	s_cbranch_execz .LBB6_18
; %bb.17:
	v_max_u32_e32 v6, 8, v0
	v_lshlrev_b32_e32 v6, 2, v6
	v_add_u32_e32 v16, 0xe0, v6
	ds_read2st64_b32 v[6:7], v16 offset0:9 offset1:10
	ds_read_b32 v20, v11
	ds_read_b32 v22, v13
	;; [unrolled: 1-line block ×4, first 2 shown]
	v_min_u32_e32 v14, 55, v0
	v_lshlrev_b32_e32 v14, 2, v14
	v_add_u32_e32 v18, 32, v14
	s_waitcnt lgkmcnt(3)
	v_div_scale_f32 v21, s[4:5], v7, v7, v20
	v_rcp_f32_e32 v25, v21
	ds_read2st64_b32 v[14:15], v18 offset0:10 offset1:11
	ds_read2st64_b32 v[16:17], v16 offset0:11 offset1:13
	;; [unrolled: 1-line block ×3, first 2 shown]
	v_fma_f32 v26, -v21, v25, 1.0
	v_fmac_f32_e32 v25, v26, v25
	v_div_scale_f32 v26, vcc, v20, v7, v20
	v_mul_f32_e32 v27, v26, v25
	v_fma_f32 v28, -v21, v27, v26
	v_fmac_f32_e32 v27, v28, v25
	v_fma_f32 v21, -v21, v27, v26
	s_waitcnt lgkmcnt(2)
	v_div_scale_f32 v26, s[4:5], v15, v15, v22
	v_rcp_f32_e32 v28, v26
	v_div_fmas_f32 v21, v21, v25, v27
	v_div_fixup_f32 v21, v21, v7, v20
	v_fma_f32 v7, -v26, v28, 1.0
	v_fmac_f32_e32 v28, v7, v28
	v_div_scale_f32 v7, vcc, v22, v15, v22
	v_mul_f32_e32 v20, v7, v28
	v_fma_f32 v25, -v26, v20, v7
	v_fmac_f32_e32 v20, v25, v28
	v_fma_f32 v7, -v26, v20, v7
	v_div_fmas_f32 v7, v7, v28, v20
	v_div_fixup_f32 v20, v7, v15, v22
	s_waitcnt lgkmcnt(1)
	v_fma_f32 v7, -v21, v16, v23
	v_fma_f32 v14, -v20, v14, v7
	;; [unrolled: 1-line block ×3, first 2 shown]
	s_waitcnt lgkmcnt(0)
	v_fma_f32 v15, -v20, v19, v7
	v_mov_b32_e32 v19, v6
	v_pk_mul_f32 v[6:7], v[20:21], v[18:19] neg_lo:[0,1] neg_hi:[0,1]
.LBB6_18:
	s_or_b64 exec, exec, s[2:3]
	s_waitcnt lgkmcnt(0)
	; wave barrier
	s_and_saveexec_b64 s[2:3], s[0:1]
	s_cbranch_execz .LBB6_20
; %bb.19:
	ds_write_b32 v12, v14
	ds_write_b32 v10, v15
	;; [unrolled: 1-line block ×4, first 2 shown]
.LBB6_20:
	s_or_b64 exec, exec, s[2:3]
	s_waitcnt lgkmcnt(0)
	; wave barrier
	s_waitcnt lgkmcnt(0)
	s_and_saveexec_b64 s[2:3], s[0:1]
	s_cbranch_execz .LBB6_22
; %bb.21:
	v_max_u32_e32 v6, 16, v0
	v_lshlrev_b32_e32 v6, 2, v6
	v_add_u32_e32 v16, 0xc0, v6
	ds_read2st64_b32 v[6:7], v16 offset0:9 offset1:10
	ds_read_b32 v20, v11
	ds_read_b32 v22, v13
	;; [unrolled: 1-line block ×4, first 2 shown]
	v_min_u32_e32 v14, 47, v0
	v_lshlrev_b32_e32 v14, 2, v14
	v_add_u32_e32 v18, 64, v14
	s_waitcnt lgkmcnt(3)
	v_div_scale_f32 v21, s[4:5], v7, v7, v20
	v_rcp_f32_e32 v25, v21
	ds_read2st64_b32 v[14:15], v18 offset0:10 offset1:11
	ds_read2st64_b32 v[16:17], v16 offset0:11 offset1:13
	;; [unrolled: 1-line block ×3, first 2 shown]
	v_fma_f32 v26, -v21, v25, 1.0
	v_fmac_f32_e32 v25, v26, v25
	v_div_scale_f32 v26, vcc, v20, v7, v20
	v_mul_f32_e32 v27, v26, v25
	v_fma_f32 v28, -v21, v27, v26
	v_fmac_f32_e32 v27, v28, v25
	v_fma_f32 v21, -v21, v27, v26
	s_waitcnt lgkmcnt(2)
	v_div_scale_f32 v26, s[4:5], v15, v15, v22
	v_rcp_f32_e32 v28, v26
	v_div_fmas_f32 v21, v21, v25, v27
	v_div_fixup_f32 v21, v21, v7, v20
	v_fma_f32 v7, -v26, v28, 1.0
	v_fmac_f32_e32 v28, v7, v28
	v_div_scale_f32 v7, vcc, v22, v15, v22
	v_mul_f32_e32 v20, v7, v28
	v_fma_f32 v25, -v26, v20, v7
	v_fmac_f32_e32 v20, v25, v28
	v_fma_f32 v7, -v26, v20, v7
	v_div_fmas_f32 v7, v7, v28, v20
	v_div_fixup_f32 v20, v7, v15, v22
	s_waitcnt lgkmcnt(1)
	v_fma_f32 v7, -v21, v16, v23
	v_fma_f32 v14, -v20, v14, v7
	;; [unrolled: 1-line block ×3, first 2 shown]
	s_waitcnt lgkmcnt(0)
	v_fma_f32 v15, -v20, v19, v7
	v_mov_b32_e32 v19, v6
	v_pk_mul_f32 v[6:7], v[20:21], v[18:19] neg_lo:[0,1] neg_hi:[0,1]
.LBB6_22:
	s_or_b64 exec, exec, s[2:3]
	s_waitcnt lgkmcnt(0)
	; wave barrier
	s_and_saveexec_b64 s[2:3], s[0:1]
	s_cbranch_execz .LBB6_24
; %bb.23:
	ds_write_b32 v12, v14
	ds_write_b32 v10, v15
	;; [unrolled: 1-line block ×4, first 2 shown]
.LBB6_24:
	s_or_b64 exec, exec, s[2:3]
	v_cmp_gt_u32_e32 vcc, 32, v0
	s_waitcnt lgkmcnt(0)
	; wave barrier
	s_waitcnt lgkmcnt(0)
	s_and_saveexec_b64 s[2:3], vcc
	s_cbranch_execz .LBB6_26
; %bb.25:
	ds_read_b32 v13, v13
	ds_read_b32 v14, v11 offset:128
	ds_read2_b32 v[6:7], v12 offset1:32
	s_waitcnt lgkmcnt(1)
	v_mul_f32_e32 v11, v13, v14
	s_waitcnt lgkmcnt(0)
	v_fma_f32 v12, v7, v6, -v11
	v_div_scale_f32 v15, s[4:5], v12, v12, 1.0
	v_rcp_f32_e32 v16, v15
	ds_read2_b32 v[10:11], v10 offset1:32
	v_div_scale_f32 v17, vcc, 1.0, v12, 1.0
	v_fma_f32 v18, -v15, v16, 1.0
	v_fmac_f32_e32 v16, v18, v16
	v_mul_f32_e32 v18, v17, v16
	v_fma_f32 v19, -v15, v18, v17
	v_fmac_f32_e32 v18, v19, v16
	v_fma_f32 v15, -v15, v18, v17
	s_waitcnt lgkmcnt(0)
	v_mul_f32_e32 v13, v13, v11
	v_div_fmas_f32 v15, v15, v16, v18
	v_fma_f32 v7, v7, v10, -v13
	v_mul_f32_e32 v10, v14, v10
	v_div_fixup_f32 v12, v15, v12, 1.0
	v_fma_f32 v6, v6, v11, -v10
	v_mul_f32_e32 v7, v12, v7
	v_mul_f32_e32 v6, v12, v6
	v_add_u32_e32 v10, 0xc00, v1
	ds_write2_b32 v10, v7, v6 offset0:64 offset1:96
.LBB6_26:
	s_or_b64 exec, exec, s[2:3]
	s_waitcnt lgkmcnt(0)
	; wave barrier
	s_waitcnt lgkmcnt(0)
	s_and_saveexec_b64 s[2:3], s[0:1]
	s_cbranch_execz .LBB6_28
; %bb.27:
	ds_read_b32 v6, v1 offset:3328
	s_waitcnt lgkmcnt(0)
	ds_write_b32 v9, v6 offset:1540
.LBB6_28:
	s_or_b64 exec, exec, s[2:3]
	s_waitcnt lgkmcnt(0)
	; wave barrier
	s_waitcnt lgkmcnt(0)
	s_and_saveexec_b64 s[2:3], s[0:1]
	s_cbranch_execz .LBB6_34
; %bb.29:
	v_cmp_ne_u32_e32 vcc, 0, v0
	v_lshlrev_b32_e32 v0, 2, v8
                                        ; implicit-def: $vgpr6
	s_and_saveexec_b64 s[0:1], vcc
	s_xor_b64 s[0:1], exec, s[0:1]
	s_cbranch_execz .LBB6_31
; %bb.30:
	v_add_u32_e32 v6, 0x500, v0
	ds_read2_b32 v[6:7], v6 offset0:63 offset1:192
	ds_read_b32 v8, v0
	s_waitcnt lgkmcnt(0)
	v_fma_f32 v6, -v8, v6, v7
.LBB6_31:
	s_andn2_saveexec_b64 s[0:1], s[0:1]
	s_cbranch_execz .LBB6_33
; %bb.32:
	ds_read_b32 v6, v0 offset:2048
.LBB6_33:
	s_or_b64 exec, exec, s[0:1]
	ds_read2st64_b32 v[8:9], v0 offset0:2 offset1:4
	ds_read_b32 v7, v0 offset:1540
	s_waitcnt lgkmcnt(0)
	v_fma_f32 v6, -v9, v7, v6
	v_div_scale_f32 v7, s[0:1], v8, v8, v6
	v_rcp_f32_e32 v9, v7
	v_div_scale_f32 v10, vcc, v6, v8, v6
	v_fma_f32 v11, -v7, v9, 1.0
	v_fmac_f32_e32 v9, v11, v9
	v_mul_f32_e32 v11, v10, v9
	v_fma_f32 v12, -v7, v11, v10
	v_fmac_f32_e32 v11, v12, v9
	v_fma_f32 v7, -v7, v11, v10
	v_div_fmas_f32 v7, v7, v9, v11
	v_div_fixup_f32 v6, v7, v8, v6
	ds_write_b32 v0, v6 offset:1536
.LBB6_34:
	s_or_b64 exec, exec, s[2:3]
	s_waitcnt lgkmcnt(0)
	; wave barrier
	s_waitcnt lgkmcnt(0)
	ds_read2st64_b32 v[0:1], v1 offset0:6 offset1:7
	s_waitcnt lgkmcnt(0)
	global_store_dword v[2:3], v0, off
	global_store_dword v[4:5], v1, off
	s_endpgm
	.section	.rodata,"a",@progbits
	.p2align	6, 0x0
	.amdhsa_kernel _ZN9rocsparseL51gtsv_nopivot_strided_batch_crpcr_pow2_shared_kernelILj64ELj64EfEEviiiPKT1_S3_S3_PS1_
		.amdhsa_group_segment_fixed_size 3840
		.amdhsa_private_segment_fixed_size 0
		.amdhsa_kernarg_size 48
		.amdhsa_user_sgpr_count 6
		.amdhsa_user_sgpr_private_segment_buffer 1
		.amdhsa_user_sgpr_dispatch_ptr 0
		.amdhsa_user_sgpr_queue_ptr 0
		.amdhsa_user_sgpr_kernarg_segment_ptr 1
		.amdhsa_user_sgpr_dispatch_id 0
		.amdhsa_user_sgpr_flat_scratch_init 0
		.amdhsa_user_sgpr_kernarg_preload_length 0
		.amdhsa_user_sgpr_kernarg_preload_offset 0
		.amdhsa_user_sgpr_private_segment_size 0
		.amdhsa_uses_dynamic_stack 0
		.amdhsa_system_sgpr_private_segment_wavefront_offset 0
		.amdhsa_system_sgpr_workgroup_id_x 1
		.amdhsa_system_sgpr_workgroup_id_y 0
		.amdhsa_system_sgpr_workgroup_id_z 0
		.amdhsa_system_sgpr_workgroup_info 0
		.amdhsa_system_vgpr_workitem_id 0
		.amdhsa_next_free_vgpr 29
		.amdhsa_next_free_sgpr 16
		.amdhsa_accum_offset 32
		.amdhsa_reserve_vcc 1
		.amdhsa_reserve_flat_scratch 0
		.amdhsa_float_round_mode_32 0
		.amdhsa_float_round_mode_16_64 0
		.amdhsa_float_denorm_mode_32 3
		.amdhsa_float_denorm_mode_16_64 3
		.amdhsa_dx10_clamp 1
		.amdhsa_ieee_mode 1
		.amdhsa_fp16_overflow 0
		.amdhsa_tg_split 0
		.amdhsa_exception_fp_ieee_invalid_op 0
		.amdhsa_exception_fp_denorm_src 0
		.amdhsa_exception_fp_ieee_div_zero 0
		.amdhsa_exception_fp_ieee_overflow 0
		.amdhsa_exception_fp_ieee_underflow 0
		.amdhsa_exception_fp_ieee_inexact 0
		.amdhsa_exception_int_div_zero 0
	.end_amdhsa_kernel
	.section	.text._ZN9rocsparseL51gtsv_nopivot_strided_batch_crpcr_pow2_shared_kernelILj64ELj64EfEEviiiPKT1_S3_S3_PS1_,"axG",@progbits,_ZN9rocsparseL51gtsv_nopivot_strided_batch_crpcr_pow2_shared_kernelILj64ELj64EfEEviiiPKT1_S3_S3_PS1_,comdat
.Lfunc_end6:
	.size	_ZN9rocsparseL51gtsv_nopivot_strided_batch_crpcr_pow2_shared_kernelILj64ELj64EfEEviiiPKT1_S3_S3_PS1_, .Lfunc_end6-_ZN9rocsparseL51gtsv_nopivot_strided_batch_crpcr_pow2_shared_kernelILj64ELj64EfEEviiiPKT1_S3_S3_PS1_
                                        ; -- End function
	.section	.AMDGPU.csdata,"",@progbits
; Kernel info:
; codeLenInByte = 3032
; NumSgprs: 20
; NumVgprs: 29
; NumAgprs: 0
; TotalNumVgprs: 29
; ScratchSize: 0
; MemoryBound: 0
; FloatMode: 240
; IeeeMode: 1
; LDSByteSize: 3840 bytes/workgroup (compile time only)
; SGPRBlocks: 2
; VGPRBlocks: 3
; NumSGPRsForWavesPerEU: 20
; NumVGPRsForWavesPerEU: 29
; AccumOffset: 32
; Occupancy: 5
; WaveLimiterHint : 0
; COMPUTE_PGM_RSRC2:SCRATCH_EN: 0
; COMPUTE_PGM_RSRC2:USER_SGPR: 6
; COMPUTE_PGM_RSRC2:TRAP_HANDLER: 0
; COMPUTE_PGM_RSRC2:TGID_X_EN: 1
; COMPUTE_PGM_RSRC2:TGID_Y_EN: 0
; COMPUTE_PGM_RSRC2:TGID_Z_EN: 0
; COMPUTE_PGM_RSRC2:TIDIG_COMP_CNT: 0
; COMPUTE_PGM_RSRC3_GFX90A:ACCUM_OFFSET: 7
; COMPUTE_PGM_RSRC3_GFX90A:TG_SPLIT: 0
	.section	.text._ZN9rocsparseL51gtsv_nopivot_strided_batch_crpcr_pow2_shared_kernelILj128ELj64EfEEviiiPKT1_S3_S3_PS1_,"axG",@progbits,_ZN9rocsparseL51gtsv_nopivot_strided_batch_crpcr_pow2_shared_kernelILj128ELj64EfEEviiiPKT1_S3_S3_PS1_,comdat
	.globl	_ZN9rocsparseL51gtsv_nopivot_strided_batch_crpcr_pow2_shared_kernelILj128ELj64EfEEviiiPKT1_S3_S3_PS1_ ; -- Begin function _ZN9rocsparseL51gtsv_nopivot_strided_batch_crpcr_pow2_shared_kernelILj128ELj64EfEEviiiPKT1_S3_S3_PS1_
	.p2align	8
	.type	_ZN9rocsparseL51gtsv_nopivot_strided_batch_crpcr_pow2_shared_kernelILj128ELj64EfEEviiiPKT1_S3_S3_PS1_,@function
_ZN9rocsparseL51gtsv_nopivot_strided_batch_crpcr_pow2_shared_kernelILj128ELj64EfEEviiiPKT1_S3_S3_PS1_: ; @_ZN9rocsparseL51gtsv_nopivot_strided_batch_crpcr_pow2_shared_kernelILj128ELj64EfEEviiiPKT1_S3_S3_PS1_
; %bb.0:
	s_load_dword s0, s[4:5], 0x8
	s_load_dwordx8 s[8:15], s[4:5], 0x10
	v_add_u32_e32 v13, 1, v0
	s_waitcnt lgkmcnt(0)
	s_mul_i32 s6, s6, s0
	v_add_u32_e32 v2, s6, v0
	v_ashrrev_i32_e32 v3, 31, v2
	v_lshlrev_b64 v[4:5], 2, v[2:3]
	v_mov_b32_e32 v1, s9
	v_add_co_u32_e32 v6, vcc, s8, v4
	v_add_u32_e32 v2, 0x80, v2
	v_mov_b32_e32 v3, 0
	v_addc_co_u32_e32 v7, vcc, v1, v5, vcc
	v_lshlrev_b64 v[8:9], 2, v[2:3]
	v_add_co_u32_e32 v2, vcc, s8, v8
	v_addc_co_u32_e32 v3, vcc, v1, v9, vcc
	global_load_dword v10, v[6:7], off
	global_load_dword v11, v[2:3], off
	v_mov_b32_e32 v1, s11
	v_add_co_u32_e32 v2, vcc, s10, v4
	v_addc_co_u32_e32 v3, vcc, v1, v5, vcc
	v_add_co_u32_e32 v6, vcc, s10, v8
	v_addc_co_u32_e32 v7, vcc, v1, v9, vcc
	global_load_dword v12, v[2:3], off
	global_load_dword v14, v[6:7], off
	v_mov_b32_e32 v1, s13
	v_add_co_u32_e32 v2, vcc, s12, v4
	v_addc_co_u32_e32 v3, vcc, v1, v5, vcc
	;; [unrolled: 7-line block ×3, first 2 shown]
	v_add_co_u32_e32 v4, vcc, s14, v8
	v_addc_co_u32_e32 v5, vcc, v1, v9, vcc
	global_load_dword v6, v[2:3], off
	global_load_dword v7, v[4:5], off
	s_movk_i32 s0, 0x80
	v_lshlrev_b32_e32 v1, 2, v0
	v_cmp_gt_u32_e64 s[0:1], s0, v0
	s_waitcnt vmcnt(6)
	ds_write2st64_b32 v1, v10, v11 offset1:2
	s_waitcnt vmcnt(4)
	ds_write2st64_b32 v1, v12, v14 offset0:4 offset1:6
	s_waitcnt vmcnt(2)
	ds_write2st64_b32 v1, v15, v16 offset0:8 offset1:10
	;; [unrolled: 2-line block ×3, first 2 shown]
	s_waitcnt lgkmcnt(0)
	s_barrier
	s_and_saveexec_b64 s[2:3], s[0:1]
	s_cbranch_execz .LBB7_2
; %bb.1:
	v_lshlrev_b32_e32 v12, 3, v13
	v_add_u32_e32 v10, -8, v12
	ds_read2_b64 v[6:9], v12 offset0:127 offset1:255
	ds_read_b64 v[10:11], v10
	ds_read_b64 v[14:15], v12 offset:4088
	v_lshlrev_b32_e32 v16, 1, v13
	v_min_u32_e32 v16, 0xff, v16
	v_lshlrev_b32_e32 v23, 2, v16
	s_waitcnt lgkmcnt(1)
	v_div_scale_f32 v18, s[4:5], v6, v6, v11
	v_rcp_f32_e32 v19, v18
	v_div_scale_f32 v21, vcc, v11, v6, v11
	v_add_u32_e32 v20, -4, v12
	v_fma_f32 v17, -v18, v19, 1.0
	v_fmac_f32_e32 v19, v17, v19
	ds_read2st64_b32 v[16:17], v23 offset1:4
	v_mul_f32_e32 v22, v21, v19
	v_fma_f32 v24, -v18, v22, v21
	v_fmac_f32_e32 v22, v24, v19
	v_fma_f32 v18, -v18, v22, v21
	s_waitcnt lgkmcnt(0)
	v_div_scale_f32 v21, s[4:5], v17, v17, v9
	v_rcp_f32_e32 v24, v21
	v_div_fmas_f32 v18, v18, v19, v22
	v_div_fixup_f32 v6, v18, v6, v11
	v_fma_f32 v7, -v6, v8, v7
	v_fma_f32 v11, -v21, v24, 1.0
	v_fmac_f32_e32 v24, v11, v24
	v_div_scale_f32 v11, vcc, v9, v17, v9
	v_mul_f32_e32 v18, v11, v24
	v_fma_f32 v19, -v21, v18, v11
	v_fmac_f32_e32 v18, v19, v24
	v_fma_f32 v11, -v21, v18, v11
	v_div_fmas_f32 v11, v11, v24, v18
	ds_read2st64_b32 v[18:19], v23 offset0:8 offset1:16
	v_div_fixup_f32 v9, v11, v17, v9
	v_fma_f32 v8, -v6, v14, v15
	v_mul_f32_e64 v6, v6, -v10
	v_fma_f32 v7, -v9, v16, v7
	s_waitcnt lgkmcnt(0)
	v_fma_f32 v8, -v9, v19, v8
	ds_write_b32 v12, v8 offset:4092
	ds_write_b32 v20, v6
	v_mul_f32_e64 v6, v9, -v18
	v_add_u32_e32 v8, 0xfc, v12
	ds_write2st64_b32 v8, v7, v6 offset0:3 offset1:7
.LBB7_2:
	s_or_b64 exec, exec, s[2:3]
	v_cmp_gt_u32_e64 s[2:3], 64, v0
	v_lshlrev_b32_e32 v8, 4, v13
	s_waitcnt lgkmcnt(0)
	s_barrier
	s_and_saveexec_b64 s[4:5], s[2:3]
	s_cbranch_execz .LBB7_4
; %bb.3:
	v_add_u32_e32 v9, -4, v8
	ds_read2_b32 v[6:7], v8 offset0:253 offset1:255
	ds_read_b32 v12, v9
	v_add_u32_e32 v10, -12, v8
	ds_read_b32 v20, v10
	v_lshl_or_b32 v10, v13, 2, 1
	v_min_u32_e32 v14, 0xff, v10
	s_waitcnt lgkmcnt(1)
	v_div_scale_f32 v16, s[6:7], v6, v6, v12
	v_rcp_f32_e32 v17, v16
	v_lshlrev_b32_e32 v21, 2, v14
	ds_read2st64_b32 v[14:15], v21 offset1:4
	v_div_scale_f32 v18, vcc, v12, v6, v12
	v_fma_f32 v10, -v16, v17, 1.0
	v_fmac_f32_e32 v17, v10, v17
	v_add_u32_e32 v10, 0x400, v8
	ds_read2_b32 v[10:11], v10 offset0:253 offset1:255
	v_mul_f32_e32 v19, v18, v17
	v_fma_f32 v22, -v16, v19, v18
	v_fmac_f32_e32 v19, v22, v17
	v_fma_f32 v16, -v16, v19, v18
	s_waitcnt lgkmcnt(0)
	v_div_scale_f32 v18, s[6:7], v15, v15, v11
	v_rcp_f32_e32 v22, v18
	v_div_fmas_f32 v16, v16, v17, v19
	v_div_fixup_f32 v6, v16, v6, v12
	v_fma_f32 v7, -v6, v10, v7
	v_fma_f32 v12, -v18, v22, 1.0
	v_fmac_f32_e32 v22, v12, v22
	v_div_scale_f32 v12, vcc, v11, v15, v11
	v_mul_f32_e32 v16, v12, v22
	v_fma_f32 v17, -v18, v16, v12
	v_fmac_f32_e32 v16, v17, v22
	v_fma_f32 v12, -v18, v16, v12
	v_div_fmas_f32 v12, v12, v22, v16
	v_add_u32_e32 v16, 0xc00, v8
	ds_read2_b32 v[16:17], v16 offset0:253 offset1:255
	ds_read2st64_b32 v[18:19], v21 offset0:8 offset1:16
	v_div_fixup_f32 v11, v12, v15, v11
	v_fma_f32 v7, -v11, v14, v7
	s_waitcnt lgkmcnt(1)
	v_fma_f32 v10, -v6, v16, v17
	v_mul_f32_e64 v6, v6, -v20
	s_waitcnt lgkmcnt(0)
	v_fma_f32 v10, -v11, v19, v10
	ds_write_b32 v9, v6
	v_mul_f32_e64 v6, v11, -v18
	v_add_u32_e32 v9, 0xfc, v8
	ds_write_b32 v8, v10 offset:4092
	ds_write2st64_b32 v9, v7, v6 offset0:3 offset1:7
.LBB7_4:
	s_or_b64 exec, exec, s[4:5]
	s_waitcnt lgkmcnt(0)
	s_barrier
	s_and_saveexec_b64 s[4:5], s[2:3]
	s_cbranch_execz .LBB7_6
; %bb.5:
	v_add_u32_e32 v9, -4, v8
	v_add_u32_e32 v6, 0xfc, v8
	ds_read2st64_b32 v[6:7], v6 offset0:3 offset1:7
	ds_read_b32 v9, v9
	ds_read_b32 v10, v8 offset:4092
	s_waitcnt lgkmcnt(1)
	ds_write2st64_b32 v1, v9, v6 offset0:20 offset1:21
	s_waitcnt lgkmcnt(1)
	ds_write2st64_b32 v1, v7, v10 offset0:22 offset1:24
.LBB7_6:
	s_or_b64 exec, exec, s[4:5]
	v_or_b32_e32 v10, 0x1400, v1
	v_or_b32_e32 v12, 0x1600, v1
	v_add_u32_e32 v11, 0x1500, v1
	v_or_b32_e32 v9, 0x1800, v1
	s_waitcnt lgkmcnt(0)
	s_barrier
	s_waitcnt lgkmcnt(0)
                                        ; implicit-def: $vgpr15
                                        ; implicit-def: $vgpr14
                                        ; implicit-def: $vgpr6_vgpr7
	s_and_saveexec_b64 s[4:5], s[2:3]
	s_cbranch_execz .LBB7_8
; %bb.7:
	v_max_u32_e32 v6, 1, v0
	v_lshlrev_b32_e32 v6, 2, v6
	v_add_u32_e32 v16, 0xfc, v6
	ds_read2st64_b32 v[6:7], v16 offset0:19 offset1:20
	ds_read_b32 v20, v10
	ds_read_b32 v22, v12
	;; [unrolled: 1-line block ×4, first 2 shown]
	v_min_u32_e32 v13, 63, v13
	v_lshlrev_b32_e32 v13, 2, v13
	ds_read2st64_b32 v[14:15], v13 offset0:20 offset1:21
	ds_read2st64_b32 v[16:17], v16 offset0:21 offset1:23
	;; [unrolled: 1-line block ×3, first 2 shown]
	s_waitcnt lgkmcnt(6)
	v_div_scale_f32 v21, s[6:7], v7, v7, v20
	v_rcp_f32_e32 v25, v21
	v_fma_f32 v13, -v21, v25, 1.0
	v_fmac_f32_e32 v25, v13, v25
	v_div_scale_f32 v13, vcc, v20, v7, v20
	v_mul_f32_e32 v26, v13, v25
	v_fma_f32 v27, -v21, v26, v13
	v_fmac_f32_e32 v26, v27, v25
	s_waitcnt lgkmcnt(2)
	v_div_scale_f32 v27, s[6:7], v15, v15, v22
	v_rcp_f32_e32 v28, v27
	v_fma_f32 v13, -v21, v26, v13
	v_div_fmas_f32 v13, v13, v25, v26
	v_div_fixup_f32 v21, v13, v7, v20
	v_fma_f32 v7, -v27, v28, 1.0
	v_fmac_f32_e32 v28, v7, v28
	v_div_scale_f32 v7, vcc, v22, v15, v22
	v_mul_f32_e32 v13, v7, v28
	v_fma_f32 v20, -v27, v13, v7
	v_fmac_f32_e32 v13, v20, v28
	v_fma_f32 v7, -v27, v13, v7
	v_div_fmas_f32 v7, v7, v28, v13
	v_div_fixup_f32 v20, v7, v15, v22
	s_waitcnt lgkmcnt(1)
	v_fma_f32 v7, -v21, v16, v23
	v_fma_f32 v14, -v20, v14, v7
	;; [unrolled: 1-line block ×3, first 2 shown]
	s_waitcnt lgkmcnt(0)
	v_fma_f32 v15, -v20, v19, v7
	v_mov_b32_e32 v19, v6
	v_pk_mul_f32 v[6:7], v[20:21], v[18:19] neg_lo:[0,1] neg_hi:[0,1]
.LBB7_8:
	s_or_b64 exec, exec, s[4:5]
	s_barrier
	s_and_saveexec_b64 s[4:5], s[2:3]
	s_cbranch_execz .LBB7_10
; %bb.9:
	ds_write_b32 v11, v14
	ds_write_b32 v9, v15
	ds_write_b32 v10, v7
	ds_write_b32 v12, v6
.LBB7_10:
	s_or_b64 exec, exec, s[4:5]
	s_waitcnt lgkmcnt(0)
	s_barrier
	s_and_saveexec_b64 s[4:5], s[2:3]
	s_cbranch_execz .LBB7_12
; %bb.11:
	v_max_u32_e32 v6, 2, v0
	v_lshlrev_b32_e32 v6, 2, v6
	v_add_u32_e32 v16, 0xf8, v6
	ds_read2st64_b32 v[6:7], v16 offset0:19 offset1:20
	ds_read_b32 v20, v10
	ds_read_b32 v22, v12
	ds_read_b32 v23, v11
	ds_read_b32 v24, v9
	v_min_u32_e32 v13, 61, v0
	v_lshlrev_b32_e32 v13, 2, v13
	v_add_u32_e32 v13, 8, v13
	s_waitcnt lgkmcnt(3)
	v_div_scale_f32 v21, s[6:7], v7, v7, v20
	v_rcp_f32_e32 v25, v21
	ds_read2st64_b32 v[14:15], v13 offset0:20 offset1:21
	ds_read2st64_b32 v[16:17], v16 offset0:21 offset1:23
	ds_read2st64_b32 v[18:19], v13 offset0:22 offset1:24
	v_fma_f32 v13, -v21, v25, 1.0
	v_fmac_f32_e32 v25, v13, v25
	v_div_scale_f32 v13, vcc, v20, v7, v20
	v_mul_f32_e32 v26, v13, v25
	v_fma_f32 v27, -v21, v26, v13
	v_fmac_f32_e32 v26, v27, v25
	s_waitcnt lgkmcnt(2)
	v_div_scale_f32 v27, s[6:7], v15, v15, v22
	v_rcp_f32_e32 v28, v27
	v_fma_f32 v13, -v21, v26, v13
	v_div_fmas_f32 v13, v13, v25, v26
	v_div_fixup_f32 v21, v13, v7, v20
	v_fma_f32 v7, -v27, v28, 1.0
	v_fmac_f32_e32 v28, v7, v28
	v_div_scale_f32 v7, vcc, v22, v15, v22
	v_mul_f32_e32 v13, v7, v28
	v_fma_f32 v20, -v27, v13, v7
	v_fmac_f32_e32 v13, v20, v28
	v_fma_f32 v7, -v27, v13, v7
	v_div_fmas_f32 v7, v7, v28, v13
	v_div_fixup_f32 v20, v7, v15, v22
	s_waitcnt lgkmcnt(1)
	v_fma_f32 v7, -v21, v16, v23
	v_fma_f32 v14, -v20, v14, v7
	v_fma_f32 v7, -v21, v17, v24
	s_waitcnt lgkmcnt(0)
	v_fma_f32 v15, -v20, v19, v7
	v_mov_b32_e32 v19, v6
	v_pk_mul_f32 v[6:7], v[20:21], v[18:19] neg_lo:[0,1] neg_hi:[0,1]
.LBB7_12:
	s_or_b64 exec, exec, s[4:5]
	s_barrier
	s_and_saveexec_b64 s[4:5], s[2:3]
	s_cbranch_execz .LBB7_14
; %bb.13:
	ds_write_b32 v11, v14
	ds_write_b32 v9, v15
	ds_write_b32 v10, v7
	ds_write_b32 v12, v6
.LBB7_14:
	s_or_b64 exec, exec, s[4:5]
	s_waitcnt lgkmcnt(0)
	s_barrier
	s_and_saveexec_b64 s[4:5], s[2:3]
	s_cbranch_execz .LBB7_16
; %bb.15:
	v_max_u32_e32 v6, 4, v0
	v_lshlrev_b32_e32 v6, 2, v6
	v_add_u32_e32 v16, 0xf0, v6
	ds_read2st64_b32 v[6:7], v16 offset0:19 offset1:20
	ds_read_b32 v20, v10
	ds_read_b32 v22, v12
	ds_read_b32 v23, v11
	ds_read_b32 v24, v9
	v_min_u32_e32 v13, 59, v0
	v_lshlrev_b32_e32 v13, 2, v13
	v_add_u32_e32 v13, 16, v13
	s_waitcnt lgkmcnt(3)
	v_div_scale_f32 v21, s[6:7], v7, v7, v20
	v_rcp_f32_e32 v25, v21
	ds_read2st64_b32 v[14:15], v13 offset0:20 offset1:21
	ds_read2st64_b32 v[16:17], v16 offset0:21 offset1:23
	ds_read2st64_b32 v[18:19], v13 offset0:22 offset1:24
	v_fma_f32 v13, -v21, v25, 1.0
	v_fmac_f32_e32 v25, v13, v25
	v_div_scale_f32 v13, vcc, v20, v7, v20
	v_mul_f32_e32 v26, v13, v25
	v_fma_f32 v27, -v21, v26, v13
	v_fmac_f32_e32 v26, v27, v25
	s_waitcnt lgkmcnt(2)
	v_div_scale_f32 v27, s[6:7], v15, v15, v22
	v_rcp_f32_e32 v28, v27
	v_fma_f32 v13, -v21, v26, v13
	v_div_fmas_f32 v13, v13, v25, v26
	v_div_fixup_f32 v21, v13, v7, v20
	v_fma_f32 v7, -v27, v28, 1.0
	v_fmac_f32_e32 v28, v7, v28
	v_div_scale_f32 v7, vcc, v22, v15, v22
	v_mul_f32_e32 v13, v7, v28
	v_fma_f32 v20, -v27, v13, v7
	v_fmac_f32_e32 v13, v20, v28
	v_fma_f32 v7, -v27, v13, v7
	v_div_fmas_f32 v7, v7, v28, v13
	v_div_fixup_f32 v20, v7, v15, v22
	s_waitcnt lgkmcnt(1)
	v_fma_f32 v7, -v21, v16, v23
	v_fma_f32 v14, -v20, v14, v7
	v_fma_f32 v7, -v21, v17, v24
	s_waitcnt lgkmcnt(0)
	v_fma_f32 v15, -v20, v19, v7
	v_mov_b32_e32 v19, v6
	v_pk_mul_f32 v[6:7], v[20:21], v[18:19] neg_lo:[0,1] neg_hi:[0,1]
.LBB7_16:
	;; [unrolled: 63-line block ×4, first 2 shown]
	s_or_b64 exec, exec, s[4:5]
	s_barrier
	s_and_saveexec_b64 s[4:5], s[2:3]
	s_cbranch_execz .LBB7_26
; %bb.25:
	ds_write_b32 v11, v14
	ds_write_b32 v9, v15
	;; [unrolled: 1-line block ×4, first 2 shown]
.LBB7_26:
	s_or_b64 exec, exec, s[4:5]
	v_cmp_gt_u32_e32 vcc, 32, v0
	s_waitcnt lgkmcnt(0)
	s_barrier
	s_and_saveexec_b64 s[4:5], vcc
	s_cbranch_execz .LBB7_28
; %bb.27:
	ds_read_b32 v12, v12
	ds_read_b32 v13, v10 offset:128
	ds_read2_b32 v[6:7], v11 offset1:32
	s_waitcnt lgkmcnt(1)
	v_mul_f32_e32 v10, v12, v13
	s_waitcnt lgkmcnt(0)
	v_fma_f32 v14, v7, v6, -v10
	v_div_scale_f32 v15, s[6:7], v14, v14, 1.0
	v_rcp_f32_e32 v16, v15
	ds_read2_b32 v[10:11], v9 offset1:32
	v_div_scale_f32 v9, vcc, 1.0, v14, 1.0
	v_fma_f32 v17, -v15, v16, 1.0
	v_fmac_f32_e32 v16, v17, v16
	v_mul_f32_e32 v17, v9, v16
	v_fma_f32 v18, -v15, v17, v9
	v_fmac_f32_e32 v17, v18, v16
	v_fma_f32 v9, -v15, v17, v9
	s_waitcnt lgkmcnt(0)
	v_mul_f32_e32 v12, v12, v11
	v_div_fmas_f32 v9, v9, v16, v17
	v_fma_f32 v7, v7, v10, -v12
	v_mul_f32_e32 v10, v13, v10
	v_div_fixup_f32 v9, v9, v14, 1.0
	v_fma_f32 v6, v6, v11, -v10
	v_mul_f32_e32 v7, v9, v7
	v_mul_f32_e32 v6, v9, v6
	v_add_u32_e32 v9, 0x1400, v1
	ds_write2_b32 v9, v7, v6 offset0:192 offset1:224
.LBB7_28:
	s_or_b64 exec, exec, s[4:5]
	s_waitcnt lgkmcnt(0)
	s_barrier
	s_and_saveexec_b64 s[4:5], s[2:3]
	s_cbranch_execz .LBB7_30
; %bb.29:
	ds_read_b32 v6, v1 offset:5888
	s_waitcnt lgkmcnt(0)
	ds_write_b32 v8, v6 offset:3068
.LBB7_30:
	s_or_b64 exec, exec, s[4:5]
	s_waitcnt lgkmcnt(0)
	s_barrier
	s_and_saveexec_b64 s[4:5], s[2:3]
	s_cbranch_execz .LBB7_36
; %bb.31:
	v_cmp_ne_u32_e32 vcc, 0, v0
	v_lshlrev_b32_e32 v6, 2, v1
                                        ; implicit-def: $vgpr7
	s_and_saveexec_b64 s[2:3], vcc
	s_xor_b64 s[2:3], exec, s[2:3]
	s_cbranch_execz .LBB7_33
; %bb.32:
	ds_read_b32 v7, v6 offset:4
	ds_read_b32 v8, v6 offset:4100
	;; [unrolled: 1-line block ×3, first 2 shown]
	s_waitcnt lgkmcnt(0)
	v_fma_f32 v7, -v7, v9, v8
.LBB7_33:
	s_andn2_saveexec_b64 s[2:3], s[2:3]
	s_cbranch_execz .LBB7_35
; %bb.34:
	ds_read_b32 v7, v6 offset:4100
.LBB7_35:
	s_or_b64 exec, exec, s[2:3]
	v_add_u32_e32 v8, 4, v6
	ds_read_b32 v10, v6 offset:3084
	ds_read2st64_b32 v[8:9], v8 offset0:4 offset1:8
	s_waitcnt lgkmcnt(0)
	v_fma_f32 v7, -v9, v10, v7
	v_div_scale_f32 v9, s[2:3], v8, v8, v7
	v_rcp_f32_e32 v10, v9
	v_div_scale_f32 v11, vcc, v7, v8, v7
	v_fma_f32 v12, -v9, v10, 1.0
	v_fmac_f32_e32 v10, v12, v10
	v_mul_f32_e32 v12, v11, v10
	v_fma_f32 v13, -v9, v12, v11
	v_fmac_f32_e32 v12, v13, v10
	v_fma_f32 v9, -v9, v12, v11
	v_div_fmas_f32 v9, v9, v10, v12
	v_div_fixup_f32 v7, v9, v8, v7
	ds_write_b32 v6, v7 offset:3076
.LBB7_36:
	s_or_b64 exec, exec, s[4:5]
	s_waitcnt lgkmcnt(0)
	s_barrier
	s_and_saveexec_b64 s[2:3], s[0:1]
	s_cbranch_execz .LBB7_42
; %bb.37:
	v_lshlrev_b32_e32 v6, 1, v0
	v_cmp_ne_u32_e32 vcc, 0, v0
	v_lshlrev_b32_e32 v0, 2, v6
                                        ; implicit-def: $vgpr6
	s_and_saveexec_b64 s[0:1], vcc
	s_xor_b64 s[0:1], exec, s[0:1]
	s_cbranch_execz .LBB7_39
; %bb.38:
	ds_read_b32 v6, v0
	ds_read_b32 v7, v0 offset:4096
	ds_read_b32 v8, v0 offset:3068
	s_waitcnt lgkmcnt(0)
	v_fma_f32 v6, -v6, v8, v7
.LBB7_39:
	s_andn2_saveexec_b64 s[0:1], s[0:1]
	s_cbranch_execz .LBB7_41
; %bb.40:
	ds_read_b32 v6, v0 offset:4096
.LBB7_41:
	s_or_b64 exec, exec, s[0:1]
	ds_read2st64_b32 v[8:9], v0 offset0:4 offset1:8
	ds_read_b32 v7, v0 offset:3076
	s_waitcnt lgkmcnt(0)
	v_fma_f32 v6, -v9, v7, v6
	v_div_scale_f32 v7, s[0:1], v8, v8, v6
	v_rcp_f32_e32 v9, v7
	v_div_scale_f32 v10, vcc, v6, v8, v6
	v_fma_f32 v11, -v7, v9, 1.0
	v_fmac_f32_e32 v9, v11, v9
	v_mul_f32_e32 v11, v10, v9
	v_fma_f32 v12, -v7, v11, v10
	v_fmac_f32_e32 v11, v12, v9
	v_fma_f32 v7, -v7, v11, v10
	v_div_fmas_f32 v7, v7, v9, v11
	v_div_fixup_f32 v6, v7, v8, v6
	ds_write_b32 v0, v6 offset:3072
.LBB7_42:
	s_or_b64 exec, exec, s[2:3]
	s_waitcnt lgkmcnt(0)
	s_barrier
	ds_read2st64_b32 v[0:1], v1 offset0:12 offset1:14
	s_waitcnt lgkmcnt(0)
	global_store_dword v[2:3], v0, off
	global_store_dword v[4:5], v1, off
	s_endpgm
	.section	.rodata,"a",@progbits
	.p2align	6, 0x0
	.amdhsa_kernel _ZN9rocsparseL51gtsv_nopivot_strided_batch_crpcr_pow2_shared_kernelILj128ELj64EfEEviiiPKT1_S3_S3_PS1_
		.amdhsa_group_segment_fixed_size 6400
		.amdhsa_private_segment_fixed_size 0
		.amdhsa_kernarg_size 48
		.amdhsa_user_sgpr_count 6
		.amdhsa_user_sgpr_private_segment_buffer 1
		.amdhsa_user_sgpr_dispatch_ptr 0
		.amdhsa_user_sgpr_queue_ptr 0
		.amdhsa_user_sgpr_kernarg_segment_ptr 1
		.amdhsa_user_sgpr_dispatch_id 0
		.amdhsa_user_sgpr_flat_scratch_init 0
		.amdhsa_user_sgpr_kernarg_preload_length 0
		.amdhsa_user_sgpr_kernarg_preload_offset 0
		.amdhsa_user_sgpr_private_segment_size 0
		.amdhsa_uses_dynamic_stack 0
		.amdhsa_system_sgpr_private_segment_wavefront_offset 0
		.amdhsa_system_sgpr_workgroup_id_x 1
		.amdhsa_system_sgpr_workgroup_id_y 0
		.amdhsa_system_sgpr_workgroup_id_z 0
		.amdhsa_system_sgpr_workgroup_info 0
		.amdhsa_system_vgpr_workitem_id 0
		.amdhsa_next_free_vgpr 29
		.amdhsa_next_free_sgpr 16
		.amdhsa_accum_offset 32
		.amdhsa_reserve_vcc 1
		.amdhsa_reserve_flat_scratch 0
		.amdhsa_float_round_mode_32 0
		.amdhsa_float_round_mode_16_64 0
		.amdhsa_float_denorm_mode_32 3
		.amdhsa_float_denorm_mode_16_64 3
		.amdhsa_dx10_clamp 1
		.amdhsa_ieee_mode 1
		.amdhsa_fp16_overflow 0
		.amdhsa_tg_split 0
		.amdhsa_exception_fp_ieee_invalid_op 0
		.amdhsa_exception_fp_denorm_src 0
		.amdhsa_exception_fp_ieee_div_zero 0
		.amdhsa_exception_fp_ieee_overflow 0
		.amdhsa_exception_fp_ieee_underflow 0
		.amdhsa_exception_fp_ieee_inexact 0
		.amdhsa_exception_int_div_zero 0
	.end_amdhsa_kernel
	.section	.text._ZN9rocsparseL51gtsv_nopivot_strided_batch_crpcr_pow2_shared_kernelILj128ELj64EfEEviiiPKT1_S3_S3_PS1_,"axG",@progbits,_ZN9rocsparseL51gtsv_nopivot_strided_batch_crpcr_pow2_shared_kernelILj128ELj64EfEEviiiPKT1_S3_S3_PS1_,comdat
.Lfunc_end7:
	.size	_ZN9rocsparseL51gtsv_nopivot_strided_batch_crpcr_pow2_shared_kernelILj128ELj64EfEEviiiPKT1_S3_S3_PS1_, .Lfunc_end7-_ZN9rocsparseL51gtsv_nopivot_strided_batch_crpcr_pow2_shared_kernelILj128ELj64EfEEviiiPKT1_S3_S3_PS1_
                                        ; -- End function
	.section	.AMDGPU.csdata,"",@progbits
; Kernel info:
; codeLenInByte = 3596
; NumSgprs: 20
; NumVgprs: 29
; NumAgprs: 0
; TotalNumVgprs: 29
; ScratchSize: 0
; MemoryBound: 0
; FloatMode: 240
; IeeeMode: 1
; LDSByteSize: 6400 bytes/workgroup (compile time only)
; SGPRBlocks: 2
; VGPRBlocks: 3
; NumSGPRsForWavesPerEU: 20
; NumVGPRsForWavesPerEU: 29
; AccumOffset: 32
; Occupancy: 5
; WaveLimiterHint : 0
; COMPUTE_PGM_RSRC2:SCRATCH_EN: 0
; COMPUTE_PGM_RSRC2:USER_SGPR: 6
; COMPUTE_PGM_RSRC2:TRAP_HANDLER: 0
; COMPUTE_PGM_RSRC2:TGID_X_EN: 1
; COMPUTE_PGM_RSRC2:TGID_Y_EN: 0
; COMPUTE_PGM_RSRC2:TGID_Z_EN: 0
; COMPUTE_PGM_RSRC2:TIDIG_COMP_CNT: 0
; COMPUTE_PGM_RSRC3_GFX90A:ACCUM_OFFSET: 7
; COMPUTE_PGM_RSRC3_GFX90A:TG_SPLIT: 0
	.section	.text._ZN9rocsparseL51gtsv_nopivot_strided_batch_crpcr_pow2_shared_kernelILj256ELj64EfEEviiiPKT1_S3_S3_PS1_,"axG",@progbits,_ZN9rocsparseL51gtsv_nopivot_strided_batch_crpcr_pow2_shared_kernelILj256ELj64EfEEviiiPKT1_S3_S3_PS1_,comdat
	.globl	_ZN9rocsparseL51gtsv_nopivot_strided_batch_crpcr_pow2_shared_kernelILj256ELj64EfEEviiiPKT1_S3_S3_PS1_ ; -- Begin function _ZN9rocsparseL51gtsv_nopivot_strided_batch_crpcr_pow2_shared_kernelILj256ELj64EfEEviiiPKT1_S3_S3_PS1_
	.p2align	8
	.type	_ZN9rocsparseL51gtsv_nopivot_strided_batch_crpcr_pow2_shared_kernelILj256ELj64EfEEviiiPKT1_S3_S3_PS1_,@function
_ZN9rocsparseL51gtsv_nopivot_strided_batch_crpcr_pow2_shared_kernelILj256ELj64EfEEviiiPKT1_S3_S3_PS1_: ; @_ZN9rocsparseL51gtsv_nopivot_strided_batch_crpcr_pow2_shared_kernelILj256ELj64EfEEviiiPKT1_S3_S3_PS1_
; %bb.0:
	s_load_dword s0, s[4:5], 0x8
	s_load_dwordx8 s[8:15], s[4:5], 0x10
	v_add_u32_e32 v13, 1, v0
	s_waitcnt lgkmcnt(0)
	s_mul_i32 s6, s6, s0
	v_add_u32_e32 v2, s6, v0
	v_ashrrev_i32_e32 v3, 31, v2
	v_lshlrev_b64 v[4:5], 2, v[2:3]
	v_mov_b32_e32 v1, s9
	v_add_co_u32_e32 v6, vcc, s8, v4
	v_add_u32_e32 v2, 0x100, v2
	v_mov_b32_e32 v3, 0
	v_addc_co_u32_e32 v7, vcc, v1, v5, vcc
	v_lshlrev_b64 v[8:9], 2, v[2:3]
	v_add_co_u32_e32 v2, vcc, s8, v8
	v_addc_co_u32_e32 v3, vcc, v1, v9, vcc
	global_load_dword v10, v[6:7], off
	global_load_dword v11, v[2:3], off
	v_mov_b32_e32 v1, s11
	v_add_co_u32_e32 v2, vcc, s10, v4
	v_addc_co_u32_e32 v3, vcc, v1, v5, vcc
	v_add_co_u32_e32 v6, vcc, s10, v8
	v_addc_co_u32_e32 v7, vcc, v1, v9, vcc
	global_load_dword v12, v[2:3], off
	global_load_dword v14, v[6:7], off
	v_mov_b32_e32 v1, s13
	v_add_co_u32_e32 v2, vcc, s12, v4
	v_addc_co_u32_e32 v3, vcc, v1, v5, vcc
	;; [unrolled: 7-line block ×3, first 2 shown]
	v_add_co_u32_e32 v4, vcc, s14, v8
	v_addc_co_u32_e32 v5, vcc, v1, v9, vcc
	global_load_dword v6, v[2:3], off
	global_load_dword v7, v[4:5], off
	s_movk_i32 s0, 0x100
	v_lshlrev_b32_e32 v1, 2, v0
	v_cmp_gt_u32_e64 s[0:1], s0, v0
	s_waitcnt vmcnt(6)
	ds_write2st64_b32 v1, v10, v11 offset1:4
	s_waitcnt vmcnt(4)
	ds_write2st64_b32 v1, v12, v14 offset0:8 offset1:12
	s_waitcnt vmcnt(2)
	ds_write2st64_b32 v1, v15, v16 offset0:16 offset1:20
	s_waitcnt vmcnt(0)
	ds_write2st64_b32 v1, v6, v7 offset0:32 offset1:36
	s_waitcnt lgkmcnt(0)
	s_barrier
	s_and_saveexec_b64 s[2:3], s[0:1]
	s_cbranch_execz .LBB8_2
; %bb.1:
	v_lshlrev_b32_e32 v12, 3, v13
	v_add_u32_e32 v10, -8, v12
	v_add_u32_e32 v6, 0x1f8, v12
	ds_read2st64_b64 v[6:9], v6 offset0:3 offset1:7
	ds_read_b64 v[10:11], v10
	ds_read_b64 v[14:15], v12 offset:8184
	v_lshlrev_b32_e32 v16, 1, v13
	v_min_u32_e32 v16, 0x1ff, v16
	v_lshlrev_b32_e32 v23, 2, v16
	s_waitcnt lgkmcnt(1)
	v_div_scale_f32 v18, s[4:5], v6, v6, v11
	v_rcp_f32_e32 v19, v18
	v_div_scale_f32 v21, vcc, v11, v6, v11
	v_add_u32_e32 v20, -4, v12
	v_fma_f32 v17, -v18, v19, 1.0
	v_fmac_f32_e32 v19, v17, v19
	ds_read2st64_b32 v[16:17], v23 offset1:8
	v_mul_f32_e32 v22, v21, v19
	v_fma_f32 v24, -v18, v22, v21
	v_fmac_f32_e32 v22, v24, v19
	v_fma_f32 v18, -v18, v22, v21
	s_waitcnt lgkmcnt(0)
	v_div_scale_f32 v21, s[4:5], v17, v17, v9
	v_rcp_f32_e32 v24, v21
	v_div_fmas_f32 v18, v18, v19, v22
	v_div_fixup_f32 v6, v18, v6, v11
	v_fma_f32 v7, -v6, v8, v7
	v_fma_f32 v11, -v21, v24, 1.0
	v_fmac_f32_e32 v24, v11, v24
	v_div_scale_f32 v11, vcc, v9, v17, v9
	v_mul_f32_e32 v18, v11, v24
	v_fma_f32 v19, -v21, v18, v11
	v_fmac_f32_e32 v18, v19, v24
	v_fma_f32 v11, -v21, v18, v11
	v_div_fmas_f32 v11, v11, v24, v18
	ds_read2st64_b32 v[18:19], v23 offset0:16 offset1:32
	v_div_fixup_f32 v9, v11, v17, v9
	v_fma_f32 v8, -v6, v14, v15
	v_mul_f32_e64 v6, v6, -v10
	v_fma_f32 v7, -v9, v16, v7
	s_waitcnt lgkmcnt(0)
	v_fma_f32 v8, -v9, v19, v8
	ds_write_b32 v12, v8 offset:8188
	ds_write_b32 v20, v6
	v_mul_f32_e64 v6, v9, -v18
	v_add_u32_e32 v8, 0xfc, v12
	ds_write2st64_b32 v8, v7, v6 offset0:7 offset1:15
.LBB8_2:
	s_or_b64 exec, exec, s[2:3]
	s_movk_i32 s2, 0x80
	v_cmp_gt_u32_e64 s[2:3], s2, v0
	s_waitcnt lgkmcnt(0)
	s_barrier
	s_and_saveexec_b64 s[4:5], s[2:3]
	s_cbranch_execz .LBB8_4
; %bb.3:
	v_lshlrev_b32_e32 v12, 4, v13
	v_add_u32_e32 v6, 0x400, v12
	v_add_u32_e32 v18, -4, v12
	ds_read2_b32 v[6:7], v6 offset0:253 offset1:255
	ds_read_b32 v14, v18
	v_add_u32_e32 v8, -12, v12
	ds_read_b32 v19, v8
	v_lshl_or_b32 v8, v13, 2, 1
	v_min_u32_e32 v10, 0x1ff, v8
	s_waitcnt lgkmcnt(1)
	v_div_scale_f32 v15, s[6:7], v6, v6, v14
	v_rcp_f32_e32 v16, v15
	v_lshlrev_b32_e32 v21, 2, v10
	ds_read2st64_b32 v[10:11], v21 offset1:8
	v_div_scale_f32 v17, vcc, v14, v6, v14
	v_fma_f32 v8, -v15, v16, 1.0
	v_fmac_f32_e32 v16, v8, v16
	v_add_u32_e32 v8, 0xc00, v12
	ds_read2_b32 v[8:9], v8 offset0:253 offset1:255
	v_mul_f32_e32 v20, v17, v16
	v_fma_f32 v22, -v15, v20, v17
	v_fmac_f32_e32 v20, v22, v16
	v_fma_f32 v15, -v15, v20, v17
	s_waitcnt lgkmcnt(0)
	v_div_scale_f32 v17, s[6:7], v11, v11, v9
	v_rcp_f32_e32 v22, v17
	v_div_fmas_f32 v15, v15, v16, v20
	v_div_fixup_f32 v6, v15, v6, v14
	v_fma_f32 v7, -v6, v8, v7
	v_fma_f32 v14, -v17, v22, 1.0
	v_fmac_f32_e32 v22, v14, v22
	v_div_scale_f32 v14, vcc, v9, v11, v9
	v_mul_f32_e32 v15, v14, v22
	v_fma_f32 v16, -v17, v15, v14
	v_fmac_f32_e32 v15, v16, v22
	v_fma_f32 v14, -v17, v15, v14
	v_div_fmas_f32 v20, v14, v22, v15
	v_add_u32_e32 v14, 0x1c00, v12
	ds_read2_b32 v[14:15], v14 offset0:253 offset1:255
	ds_read2st64_b32 v[16:17], v21 offset0:16 offset1:32
	v_div_fixup_f32 v9, v20, v11, v9
	v_fma_f32 v7, -v9, v10, v7
	s_waitcnt lgkmcnt(1)
	v_fma_f32 v8, -v6, v14, v15
	s_waitcnt lgkmcnt(0)
	v_fma_f32 v8, -v9, v17, v8
	v_mul_f32_e64 v6, v6, -v19
	ds_write_b32 v12, v8 offset:8188
	ds_write_b32 v18, v6
	v_mul_f32_e64 v6, v9, -v16
	v_add_u32_e32 v8, 0xfc, v12
	ds_write2st64_b32 v8, v7, v6 offset0:7 offset1:15
.LBB8_4:
	s_or_b64 exec, exec, s[4:5]
	v_cmp_gt_u32_e64 s[4:5], 64, v0
	v_lshlrev_b32_e32 v8, 5, v13
	s_waitcnt lgkmcnt(0)
	s_barrier
	s_and_saveexec_b64 s[6:7], s[4:5]
	s_cbranch_execz .LBB8_6
; %bb.5:
	v_add_u32_e32 v6, 0x400, v8
	v_add_u32_e32 v9, -4, v8
	ds_read2_b32 v[6:7], v6 offset0:251 offset1:255
	ds_read_b32 v12, v9
	v_subrev_u32_e32 v10, 20, v8
	ds_read_b32 v20, v10
	v_lshl_or_b32 v10, v13, 3, 3
	v_min_u32_e32 v14, 0x1ff, v10
	s_waitcnt lgkmcnt(1)
	v_div_scale_f32 v16, s[8:9], v6, v6, v12
	v_rcp_f32_e32 v17, v16
	v_lshlrev_b32_e32 v21, 2, v14
	ds_read2st64_b32 v[14:15], v21 offset1:8
	v_div_scale_f32 v18, vcc, v12, v6, v12
	v_fma_f32 v10, -v16, v17, 1.0
	v_fmac_f32_e32 v17, v10, v17
	v_add_u32_e32 v10, 0xc00, v8
	ds_read2_b32 v[10:11], v10 offset0:251 offset1:255
	v_mul_f32_e32 v19, v18, v17
	v_fma_f32 v22, -v16, v19, v18
	v_fmac_f32_e32 v19, v22, v17
	v_fma_f32 v16, -v16, v19, v18
	s_waitcnt lgkmcnt(0)
	v_div_scale_f32 v18, s[8:9], v15, v15, v11
	v_rcp_f32_e32 v22, v18
	v_div_fmas_f32 v16, v16, v17, v19
	v_div_fixup_f32 v6, v16, v6, v12
	v_fma_f32 v7, -v6, v10, v7
	v_fma_f32 v12, -v18, v22, 1.0
	v_fmac_f32_e32 v22, v12, v22
	v_div_scale_f32 v12, vcc, v11, v15, v11
	v_mul_f32_e32 v16, v12, v22
	v_fma_f32 v17, -v18, v16, v12
	v_fmac_f32_e32 v16, v17, v22
	v_fma_f32 v12, -v18, v16, v12
	v_div_fmas_f32 v12, v12, v22, v16
	v_add_u32_e32 v16, 0x1c00, v8
	ds_read2_b32 v[16:17], v16 offset0:251 offset1:255
	ds_read2st64_b32 v[18:19], v21 offset0:16 offset1:32
	v_div_fixup_f32 v11, v12, v15, v11
	v_fma_f32 v7, -v11, v14, v7
	s_waitcnt lgkmcnt(1)
	v_fma_f32 v10, -v6, v16, v17
	v_mul_f32_e64 v6, v6, -v20
	s_waitcnt lgkmcnt(0)
	v_fma_f32 v10, -v11, v19, v10
	ds_write_b32 v9, v6
	v_mul_f32_e64 v6, v11, -v18
	v_add_u32_e32 v9, 0xfc, v8
	ds_write_b32 v8, v10 offset:8188
	ds_write2st64_b32 v9, v7, v6 offset0:7 offset1:15
.LBB8_6:
	s_or_b64 exec, exec, s[6:7]
	s_waitcnt lgkmcnt(0)
	s_barrier
	s_and_saveexec_b64 s[6:7], s[4:5]
	s_cbranch_execz .LBB8_8
; %bb.7:
	v_add_u32_e32 v9, -4, v8
	v_add_u32_e32 v6, 0xfc, v8
	ds_read2st64_b32 v[6:7], v6 offset0:7 offset1:15
	ds_read_b32 v9, v9
	ds_read_b32 v10, v8 offset:8188
	s_waitcnt lgkmcnt(1)
	ds_write2st64_b32 v1, v9, v6 offset0:40 offset1:41
	s_waitcnt lgkmcnt(1)
	ds_write2st64_b32 v1, v7, v10 offset0:42 offset1:44
.LBB8_8:
	s_or_b64 exec, exec, s[6:7]
	v_or_b32_e32 v10, 0x2800, v1
	v_add_u32_e32 v12, 0x2a00, v1
	v_add_u32_e32 v11, 0x2900, v1
	v_or_b32_e32 v9, 0x2c00, v1
	s_waitcnt lgkmcnt(0)
	s_barrier
	s_waitcnt lgkmcnt(0)
                                        ; implicit-def: $vgpr15
                                        ; implicit-def: $vgpr14
                                        ; implicit-def: $vgpr6_vgpr7
	s_and_saveexec_b64 s[6:7], s[4:5]
	s_cbranch_execz .LBB8_10
; %bb.9:
	v_max_u32_e32 v6, 1, v0
	v_lshlrev_b32_e32 v6, 2, v6
	v_add_u32_e32 v16, 0xfc, v6
	ds_read2st64_b32 v[6:7], v16 offset0:39 offset1:40
	ds_read_b32 v20, v10
	ds_read_b32 v22, v12
	;; [unrolled: 1-line block ×4, first 2 shown]
	v_min_u32_e32 v13, 63, v13
	v_lshlrev_b32_e32 v13, 2, v13
	ds_read2st64_b32 v[14:15], v13 offset0:40 offset1:41
	ds_read2st64_b32 v[16:17], v16 offset0:41 offset1:43
	;; [unrolled: 1-line block ×3, first 2 shown]
	s_waitcnt lgkmcnt(6)
	v_div_scale_f32 v21, s[8:9], v7, v7, v20
	v_rcp_f32_e32 v25, v21
	v_fma_f32 v13, -v21, v25, 1.0
	v_fmac_f32_e32 v25, v13, v25
	v_div_scale_f32 v13, vcc, v20, v7, v20
	v_mul_f32_e32 v26, v13, v25
	v_fma_f32 v27, -v21, v26, v13
	v_fmac_f32_e32 v26, v27, v25
	s_waitcnt lgkmcnt(2)
	v_div_scale_f32 v27, s[8:9], v15, v15, v22
	v_rcp_f32_e32 v28, v27
	v_fma_f32 v13, -v21, v26, v13
	v_div_fmas_f32 v13, v13, v25, v26
	v_div_fixup_f32 v21, v13, v7, v20
	v_fma_f32 v7, -v27, v28, 1.0
	v_fmac_f32_e32 v28, v7, v28
	v_div_scale_f32 v7, vcc, v22, v15, v22
	v_mul_f32_e32 v13, v7, v28
	v_fma_f32 v20, -v27, v13, v7
	v_fmac_f32_e32 v13, v20, v28
	v_fma_f32 v7, -v27, v13, v7
	v_div_fmas_f32 v7, v7, v28, v13
	v_div_fixup_f32 v20, v7, v15, v22
	s_waitcnt lgkmcnt(1)
	v_fma_f32 v7, -v21, v16, v23
	v_fma_f32 v14, -v20, v14, v7
	;; [unrolled: 1-line block ×3, first 2 shown]
	s_waitcnt lgkmcnt(0)
	v_fma_f32 v15, -v20, v19, v7
	v_mov_b32_e32 v19, v6
	v_pk_mul_f32 v[6:7], v[20:21], v[18:19] neg_lo:[0,1] neg_hi:[0,1]
.LBB8_10:
	s_or_b64 exec, exec, s[6:7]
	s_barrier
	s_and_saveexec_b64 s[6:7], s[4:5]
	s_cbranch_execz .LBB8_12
; %bb.11:
	ds_write_b32 v11, v14
	ds_write_b32 v9, v15
	ds_write_b32 v10, v7
	ds_write_b32 v12, v6
.LBB8_12:
	s_or_b64 exec, exec, s[6:7]
	s_waitcnt lgkmcnt(0)
	s_barrier
	s_and_saveexec_b64 s[6:7], s[4:5]
	s_cbranch_execz .LBB8_14
; %bb.13:
	v_max_u32_e32 v6, 2, v0
	v_lshlrev_b32_e32 v6, 2, v6
	v_add_u32_e32 v16, 0xf8, v6
	ds_read2st64_b32 v[6:7], v16 offset0:39 offset1:40
	ds_read_b32 v20, v10
	ds_read_b32 v22, v12
	ds_read_b32 v23, v11
	ds_read_b32 v24, v9
	v_min_u32_e32 v13, 61, v0
	v_lshlrev_b32_e32 v13, 2, v13
	v_add_u32_e32 v13, 8, v13
	s_waitcnt lgkmcnt(3)
	v_div_scale_f32 v21, s[8:9], v7, v7, v20
	v_rcp_f32_e32 v25, v21
	ds_read2st64_b32 v[14:15], v13 offset0:40 offset1:41
	ds_read2st64_b32 v[16:17], v16 offset0:41 offset1:43
	ds_read2st64_b32 v[18:19], v13 offset0:42 offset1:44
	v_fma_f32 v13, -v21, v25, 1.0
	v_fmac_f32_e32 v25, v13, v25
	v_div_scale_f32 v13, vcc, v20, v7, v20
	v_mul_f32_e32 v26, v13, v25
	v_fma_f32 v27, -v21, v26, v13
	v_fmac_f32_e32 v26, v27, v25
	s_waitcnt lgkmcnt(2)
	v_div_scale_f32 v27, s[8:9], v15, v15, v22
	v_rcp_f32_e32 v28, v27
	v_fma_f32 v13, -v21, v26, v13
	v_div_fmas_f32 v13, v13, v25, v26
	v_div_fixup_f32 v21, v13, v7, v20
	v_fma_f32 v7, -v27, v28, 1.0
	v_fmac_f32_e32 v28, v7, v28
	v_div_scale_f32 v7, vcc, v22, v15, v22
	v_mul_f32_e32 v13, v7, v28
	v_fma_f32 v20, -v27, v13, v7
	v_fmac_f32_e32 v13, v20, v28
	v_fma_f32 v7, -v27, v13, v7
	v_div_fmas_f32 v7, v7, v28, v13
	v_div_fixup_f32 v20, v7, v15, v22
	s_waitcnt lgkmcnt(1)
	v_fma_f32 v7, -v21, v16, v23
	v_fma_f32 v14, -v20, v14, v7
	v_fma_f32 v7, -v21, v17, v24
	s_waitcnt lgkmcnt(0)
	v_fma_f32 v15, -v20, v19, v7
	v_mov_b32_e32 v19, v6
	v_pk_mul_f32 v[6:7], v[20:21], v[18:19] neg_lo:[0,1] neg_hi:[0,1]
.LBB8_14:
	s_or_b64 exec, exec, s[6:7]
	s_barrier
	s_and_saveexec_b64 s[6:7], s[4:5]
	s_cbranch_execz .LBB8_16
; %bb.15:
	ds_write_b32 v11, v14
	ds_write_b32 v9, v15
	ds_write_b32 v10, v7
	ds_write_b32 v12, v6
.LBB8_16:
	s_or_b64 exec, exec, s[6:7]
	s_waitcnt lgkmcnt(0)
	s_barrier
	s_and_saveexec_b64 s[6:7], s[4:5]
	s_cbranch_execz .LBB8_18
; %bb.17:
	v_max_u32_e32 v6, 4, v0
	v_lshlrev_b32_e32 v6, 2, v6
	v_add_u32_e32 v16, 0xf0, v6
	ds_read2st64_b32 v[6:7], v16 offset0:39 offset1:40
	ds_read_b32 v20, v10
	ds_read_b32 v22, v12
	ds_read_b32 v23, v11
	ds_read_b32 v24, v9
	v_min_u32_e32 v13, 59, v0
	v_lshlrev_b32_e32 v13, 2, v13
	v_add_u32_e32 v13, 16, v13
	s_waitcnt lgkmcnt(3)
	v_div_scale_f32 v21, s[8:9], v7, v7, v20
	v_rcp_f32_e32 v25, v21
	ds_read2st64_b32 v[14:15], v13 offset0:40 offset1:41
	ds_read2st64_b32 v[16:17], v16 offset0:41 offset1:43
	ds_read2st64_b32 v[18:19], v13 offset0:42 offset1:44
	v_fma_f32 v13, -v21, v25, 1.0
	v_fmac_f32_e32 v25, v13, v25
	v_div_scale_f32 v13, vcc, v20, v7, v20
	v_mul_f32_e32 v26, v13, v25
	v_fma_f32 v27, -v21, v26, v13
	v_fmac_f32_e32 v26, v27, v25
	s_waitcnt lgkmcnt(2)
	v_div_scale_f32 v27, s[8:9], v15, v15, v22
	v_rcp_f32_e32 v28, v27
	v_fma_f32 v13, -v21, v26, v13
	v_div_fmas_f32 v13, v13, v25, v26
	v_div_fixup_f32 v21, v13, v7, v20
	v_fma_f32 v7, -v27, v28, 1.0
	v_fmac_f32_e32 v28, v7, v28
	v_div_scale_f32 v7, vcc, v22, v15, v22
	v_mul_f32_e32 v13, v7, v28
	v_fma_f32 v20, -v27, v13, v7
	v_fmac_f32_e32 v13, v20, v28
	v_fma_f32 v7, -v27, v13, v7
	v_div_fmas_f32 v7, v7, v28, v13
	v_div_fixup_f32 v20, v7, v15, v22
	s_waitcnt lgkmcnt(1)
	v_fma_f32 v7, -v21, v16, v23
	v_fma_f32 v14, -v20, v14, v7
	v_fma_f32 v7, -v21, v17, v24
	s_waitcnt lgkmcnt(0)
	v_fma_f32 v15, -v20, v19, v7
	v_mov_b32_e32 v19, v6
	v_pk_mul_f32 v[6:7], v[20:21], v[18:19] neg_lo:[0,1] neg_hi:[0,1]
.LBB8_18:
	s_or_b64 exec, exec, s[6:7]
	s_barrier
	s_and_saveexec_b64 s[6:7], s[4:5]
	s_cbranch_execz .LBB8_20
; %bb.19:
	ds_write_b32 v11, v14
	ds_write_b32 v9, v15
	ds_write_b32 v10, v7
	ds_write_b32 v12, v6
.LBB8_20:
	s_or_b64 exec, exec, s[6:7]
	s_waitcnt lgkmcnt(0)
	s_barrier
	s_and_saveexec_b64 s[6:7], s[4:5]
	s_cbranch_execz .LBB8_22
; %bb.21:
	v_max_u32_e32 v6, 8, v0
	v_lshlrev_b32_e32 v6, 2, v6
	v_add_u32_e32 v16, 0xe0, v6
	ds_read2st64_b32 v[6:7], v16 offset0:39 offset1:40
	ds_read_b32 v20, v10
	ds_read_b32 v22, v12
	ds_read_b32 v23, v11
	ds_read_b32 v24, v9
	v_min_u32_e32 v13, 55, v0
	v_lshlrev_b32_e32 v13, 2, v13
	v_add_u32_e32 v13, 32, v13
	s_waitcnt lgkmcnt(3)
	v_div_scale_f32 v21, s[8:9], v7, v7, v20
	v_rcp_f32_e32 v25, v21
	ds_read2st64_b32 v[14:15], v13 offset0:40 offset1:41
	ds_read2st64_b32 v[16:17], v16 offset0:41 offset1:43
	ds_read2st64_b32 v[18:19], v13 offset0:42 offset1:44
	v_fma_f32 v13, -v21, v25, 1.0
	v_fmac_f32_e32 v25, v13, v25
	v_div_scale_f32 v13, vcc, v20, v7, v20
	v_mul_f32_e32 v26, v13, v25
	v_fma_f32 v27, -v21, v26, v13
	v_fmac_f32_e32 v26, v27, v25
	s_waitcnt lgkmcnt(2)
	v_div_scale_f32 v27, s[8:9], v15, v15, v22
	v_rcp_f32_e32 v28, v27
	v_fma_f32 v13, -v21, v26, v13
	v_div_fmas_f32 v13, v13, v25, v26
	v_div_fixup_f32 v21, v13, v7, v20
	v_fma_f32 v7, -v27, v28, 1.0
	v_fmac_f32_e32 v28, v7, v28
	v_div_scale_f32 v7, vcc, v22, v15, v22
	v_mul_f32_e32 v13, v7, v28
	v_fma_f32 v20, -v27, v13, v7
	v_fmac_f32_e32 v13, v20, v28
	v_fma_f32 v7, -v27, v13, v7
	v_div_fmas_f32 v7, v7, v28, v13
	v_div_fixup_f32 v20, v7, v15, v22
	s_waitcnt lgkmcnt(1)
	v_fma_f32 v7, -v21, v16, v23
	v_fma_f32 v14, -v20, v14, v7
	v_fma_f32 v7, -v21, v17, v24
	s_waitcnt lgkmcnt(0)
	v_fma_f32 v15, -v20, v19, v7
	v_mov_b32_e32 v19, v6
	v_pk_mul_f32 v[6:7], v[20:21], v[18:19] neg_lo:[0,1] neg_hi:[0,1]
.LBB8_22:
	s_or_b64 exec, exec, s[6:7]
	s_barrier
	s_and_saveexec_b64 s[6:7], s[4:5]
	s_cbranch_execz .LBB8_24
; %bb.23:
	ds_write_b32 v11, v14
	ds_write_b32 v9, v15
	ds_write_b32 v10, v7
	ds_write_b32 v12, v6
.LBB8_24:
	s_or_b64 exec, exec, s[6:7]
	s_waitcnt lgkmcnt(0)
	s_barrier
	s_and_saveexec_b64 s[6:7], s[4:5]
	s_cbranch_execz .LBB8_26
; %bb.25:
	v_max_u32_e32 v6, 16, v0
	v_lshlrev_b32_e32 v6, 2, v6
	v_add_u32_e32 v16, 0xc0, v6
	ds_read2st64_b32 v[6:7], v16 offset0:39 offset1:40
	ds_read_b32 v20, v10
	ds_read_b32 v22, v12
	ds_read_b32 v23, v11
	ds_read_b32 v24, v9
	v_min_u32_e32 v13, 47, v0
	v_lshlrev_b32_e32 v13, 2, v13
	v_add_u32_e32 v13, 64, v13
	s_waitcnt lgkmcnt(3)
	v_div_scale_f32 v21, s[8:9], v7, v7, v20
	v_rcp_f32_e32 v25, v21
	ds_read2st64_b32 v[14:15], v13 offset0:40 offset1:41
	ds_read2st64_b32 v[16:17], v16 offset0:41 offset1:43
	ds_read2st64_b32 v[18:19], v13 offset0:42 offset1:44
	v_fma_f32 v13, -v21, v25, 1.0
	v_fmac_f32_e32 v25, v13, v25
	v_div_scale_f32 v13, vcc, v20, v7, v20
	v_mul_f32_e32 v26, v13, v25
	v_fma_f32 v27, -v21, v26, v13
	v_fmac_f32_e32 v26, v27, v25
	s_waitcnt lgkmcnt(2)
	v_div_scale_f32 v27, s[8:9], v15, v15, v22
	v_rcp_f32_e32 v28, v27
	v_fma_f32 v13, -v21, v26, v13
	v_div_fmas_f32 v13, v13, v25, v26
	v_div_fixup_f32 v21, v13, v7, v20
	v_fma_f32 v7, -v27, v28, 1.0
	v_fmac_f32_e32 v28, v7, v28
	v_div_scale_f32 v7, vcc, v22, v15, v22
	v_mul_f32_e32 v13, v7, v28
	v_fma_f32 v20, -v27, v13, v7
	v_fmac_f32_e32 v13, v20, v28
	v_fma_f32 v7, -v27, v13, v7
	v_div_fmas_f32 v7, v7, v28, v13
	v_div_fixup_f32 v20, v7, v15, v22
	s_waitcnt lgkmcnt(1)
	v_fma_f32 v7, -v21, v16, v23
	v_fma_f32 v14, -v20, v14, v7
	v_fma_f32 v7, -v21, v17, v24
	s_waitcnt lgkmcnt(0)
	v_fma_f32 v15, -v20, v19, v7
	v_mov_b32_e32 v19, v6
	v_pk_mul_f32 v[6:7], v[20:21], v[18:19] neg_lo:[0,1] neg_hi:[0,1]
.LBB8_26:
	s_or_b64 exec, exec, s[6:7]
	s_barrier
	s_and_saveexec_b64 s[6:7], s[4:5]
	s_cbranch_execz .LBB8_28
; %bb.27:
	ds_write_b32 v11, v14
	ds_write_b32 v9, v15
	;; [unrolled: 1-line block ×4, first 2 shown]
.LBB8_28:
	s_or_b64 exec, exec, s[6:7]
	v_cmp_gt_u32_e32 vcc, 32, v0
	s_waitcnt lgkmcnt(0)
	s_barrier
	s_and_saveexec_b64 s[6:7], vcc
	s_cbranch_execz .LBB8_30
; %bb.29:
	ds_read_b32 v12, v12
	ds_read_b32 v13, v10 offset:128
	ds_read2_b32 v[6:7], v11 offset1:32
	s_waitcnt lgkmcnt(1)
	v_mul_f32_e32 v10, v12, v13
	s_waitcnt lgkmcnt(0)
	v_fma_f32 v14, v7, v6, -v10
	v_div_scale_f32 v15, s[8:9], v14, v14, 1.0
	v_rcp_f32_e32 v16, v15
	ds_read2_b32 v[10:11], v9 offset1:32
	v_div_scale_f32 v9, vcc, 1.0, v14, 1.0
	v_fma_f32 v17, -v15, v16, 1.0
	v_fmac_f32_e32 v16, v17, v16
	v_mul_f32_e32 v17, v9, v16
	v_fma_f32 v18, -v15, v17, v9
	v_fmac_f32_e32 v17, v18, v16
	v_fma_f32 v9, -v15, v17, v9
	s_waitcnt lgkmcnt(0)
	v_mul_f32_e32 v12, v12, v11
	v_div_fmas_f32 v9, v9, v16, v17
	v_fma_f32 v7, v7, v10, -v12
	v_mul_f32_e32 v10, v13, v10
	v_div_fixup_f32 v9, v9, v14, 1.0
	v_fma_f32 v6, v6, v11, -v10
	v_mul_f32_e32 v7, v9, v7
	v_mul_f32_e32 v6, v9, v6
	v_add_u32_e32 v9, 0x2800, v1
	ds_write2_b32 v9, v7, v6 offset0:192 offset1:224
.LBB8_30:
	s_or_b64 exec, exec, s[6:7]
	s_waitcnt lgkmcnt(0)
	s_barrier
	s_and_saveexec_b64 s[6:7], s[4:5]
	s_cbranch_execz .LBB8_32
; %bb.31:
	ds_read_b32 v6, v1 offset:11008
	s_waitcnt lgkmcnt(0)
	ds_write_b32 v8, v6 offset:6140
.LBB8_32:
	s_or_b64 exec, exec, s[6:7]
	s_waitcnt lgkmcnt(0)
	s_barrier
	s_and_saveexec_b64 s[6:7], s[4:5]
	s_cbranch_execz .LBB8_38
; %bb.33:
	v_lshlrev_b32_e32 v6, 3, v0
	v_cmp_ne_u32_e32 vcc, 0, v0
	v_lshlrev_b32_e32 v6, 2, v6
                                        ; implicit-def: $vgpr7
	s_and_saveexec_b64 s[4:5], vcc
	s_xor_b64 s[4:5], exec, s[4:5]
	s_cbranch_execz .LBB8_35
; %bb.34:
	ds_read_b32 v7, v6 offset:12
	ds_read_b32 v8, v6 offset:8204
	ds_read_b32 v9, v6 offset:6140
	s_waitcnt lgkmcnt(0)
	v_fma_f32 v7, -v7, v9, v8
.LBB8_35:
	s_andn2_saveexec_b64 s[4:5], s[4:5]
	s_cbranch_execz .LBB8_37
; %bb.36:
	ds_read_b32 v7, v6 offset:8204
.LBB8_37:
	s_or_b64 exec, exec, s[4:5]
	v_add_u32_e32 v8, 12, v6
	ds_read_b32 v10, v6 offset:6172
	ds_read2st64_b32 v[8:9], v8 offset0:8 offset1:16
	s_waitcnt lgkmcnt(0)
	v_fma_f32 v7, -v9, v10, v7
	v_div_scale_f32 v9, s[4:5], v8, v8, v7
	v_rcp_f32_e32 v10, v9
	v_div_scale_f32 v11, vcc, v7, v8, v7
	v_fma_f32 v12, -v9, v10, 1.0
	v_fmac_f32_e32 v10, v12, v10
	v_mul_f32_e32 v12, v11, v10
	v_fma_f32 v13, -v9, v12, v11
	v_fmac_f32_e32 v12, v13, v10
	v_fma_f32 v9, -v9, v12, v11
	v_div_fmas_f32 v9, v9, v10, v12
	v_div_fixup_f32 v7, v9, v8, v7
	ds_write_b32 v6, v7 offset:6156
.LBB8_38:
	s_or_b64 exec, exec, s[6:7]
	s_waitcnt lgkmcnt(0)
	s_barrier
	s_and_saveexec_b64 s[4:5], s[2:3]
	s_cbranch_execz .LBB8_44
; %bb.39:
	v_cmp_ne_u32_e32 vcc, 0, v0
	v_lshlrev_b32_e32 v6, 2, v1
                                        ; implicit-def: $vgpr7
	s_and_saveexec_b64 s[2:3], vcc
	s_xor_b64 s[2:3], exec, s[2:3]
	s_cbranch_execz .LBB8_41
; %bb.40:
	ds_read_b32 v7, v6 offset:4
	ds_read_b32 v8, v6 offset:8196
	ds_read_b32 v9, v6 offset:6140
	s_waitcnt lgkmcnt(0)
	v_fma_f32 v7, -v7, v9, v8
.LBB8_41:
	s_andn2_saveexec_b64 s[2:3], s[2:3]
	s_cbranch_execz .LBB8_43
; %bb.42:
	ds_read_b32 v7, v6 offset:8196
.LBB8_43:
	s_or_b64 exec, exec, s[2:3]
	v_add_u32_e32 v8, 4, v6
	ds_read_b32 v10, v6 offset:6156
	ds_read2st64_b32 v[8:9], v8 offset0:8 offset1:16
	s_waitcnt lgkmcnt(0)
	v_fma_f32 v7, -v9, v10, v7
	v_div_scale_f32 v9, s[2:3], v8, v8, v7
	v_rcp_f32_e32 v10, v9
	v_div_scale_f32 v11, vcc, v7, v8, v7
	v_fma_f32 v12, -v9, v10, 1.0
	v_fmac_f32_e32 v10, v12, v10
	v_mul_f32_e32 v12, v11, v10
	v_fma_f32 v13, -v9, v12, v11
	v_fmac_f32_e32 v12, v13, v10
	v_fma_f32 v9, -v9, v12, v11
	v_div_fmas_f32 v9, v9, v10, v12
	v_div_fixup_f32 v7, v9, v8, v7
	ds_write_b32 v6, v7 offset:6148
.LBB8_44:
	s_or_b64 exec, exec, s[4:5]
	s_waitcnt lgkmcnt(0)
	s_barrier
	s_and_saveexec_b64 s[2:3], s[0:1]
	s_cbranch_execz .LBB8_50
; %bb.45:
	v_lshlrev_b32_e32 v6, 1, v0
	v_cmp_ne_u32_e32 vcc, 0, v0
	v_lshlrev_b32_e32 v0, 2, v6
                                        ; implicit-def: $vgpr6
	s_and_saveexec_b64 s[0:1], vcc
	s_xor_b64 s[0:1], exec, s[0:1]
	s_cbranch_execz .LBB8_47
; %bb.46:
	ds_read_b32 v6, v0
	ds_read_b32 v7, v0 offset:8192
	ds_read_b32 v8, v0 offset:6140
	s_waitcnt lgkmcnt(0)
	v_fma_f32 v6, -v6, v8, v7
.LBB8_47:
	s_andn2_saveexec_b64 s[0:1], s[0:1]
	s_cbranch_execz .LBB8_49
; %bb.48:
	ds_read_b32 v6, v0 offset:8192
.LBB8_49:
	s_or_b64 exec, exec, s[0:1]
	ds_read2st64_b32 v[8:9], v0 offset0:8 offset1:16
	ds_read_b32 v7, v0 offset:6148
	s_waitcnt lgkmcnt(0)
	v_fma_f32 v6, -v9, v7, v6
	v_div_scale_f32 v7, s[0:1], v8, v8, v6
	v_rcp_f32_e32 v9, v7
	v_div_scale_f32 v10, vcc, v6, v8, v6
	v_fma_f32 v11, -v7, v9, 1.0
	v_fmac_f32_e32 v9, v11, v9
	v_mul_f32_e32 v11, v10, v9
	v_fma_f32 v12, -v7, v11, v10
	v_fmac_f32_e32 v11, v12, v9
	v_fma_f32 v7, -v7, v11, v10
	v_div_fmas_f32 v7, v7, v9, v11
	v_div_fixup_f32 v6, v7, v8, v6
	ds_write_b32 v0, v6 offset:6144
.LBB8_50:
	s_or_b64 exec, exec, s[2:3]
	s_waitcnt lgkmcnt(0)
	s_barrier
	ds_read2st64_b32 v[0:1], v1 offset0:24 offset1:28
	s_waitcnt lgkmcnt(0)
	global_store_dword v[2:3], v0, off
	global_store_dword v[4:5], v1, off
	s_endpgm
	.section	.rodata,"a",@progbits
	.p2align	6, 0x0
	.amdhsa_kernel _ZN9rocsparseL51gtsv_nopivot_strided_batch_crpcr_pow2_shared_kernelILj256ELj64EfEEviiiPKT1_S3_S3_PS1_
		.amdhsa_group_segment_fixed_size 11520
		.amdhsa_private_segment_fixed_size 0
		.amdhsa_kernarg_size 48
		.amdhsa_user_sgpr_count 6
		.amdhsa_user_sgpr_private_segment_buffer 1
		.amdhsa_user_sgpr_dispatch_ptr 0
		.amdhsa_user_sgpr_queue_ptr 0
		.amdhsa_user_sgpr_kernarg_segment_ptr 1
		.amdhsa_user_sgpr_dispatch_id 0
		.amdhsa_user_sgpr_flat_scratch_init 0
		.amdhsa_user_sgpr_kernarg_preload_length 0
		.amdhsa_user_sgpr_kernarg_preload_offset 0
		.amdhsa_user_sgpr_private_segment_size 0
		.amdhsa_uses_dynamic_stack 0
		.amdhsa_system_sgpr_private_segment_wavefront_offset 0
		.amdhsa_system_sgpr_workgroup_id_x 1
		.amdhsa_system_sgpr_workgroup_id_y 0
		.amdhsa_system_sgpr_workgroup_id_z 0
		.amdhsa_system_sgpr_workgroup_info 0
		.amdhsa_system_vgpr_workitem_id 0
		.amdhsa_next_free_vgpr 29
		.amdhsa_next_free_sgpr 16
		.amdhsa_accum_offset 32
		.amdhsa_reserve_vcc 1
		.amdhsa_reserve_flat_scratch 0
		.amdhsa_float_round_mode_32 0
		.amdhsa_float_round_mode_16_64 0
		.amdhsa_float_denorm_mode_32 3
		.amdhsa_float_denorm_mode_16_64 3
		.amdhsa_dx10_clamp 1
		.amdhsa_ieee_mode 1
		.amdhsa_fp16_overflow 0
		.amdhsa_tg_split 0
		.amdhsa_exception_fp_ieee_invalid_op 0
		.amdhsa_exception_fp_denorm_src 0
		.amdhsa_exception_fp_ieee_div_zero 0
		.amdhsa_exception_fp_ieee_overflow 0
		.amdhsa_exception_fp_ieee_underflow 0
		.amdhsa_exception_fp_ieee_inexact 0
		.amdhsa_exception_int_div_zero 0
	.end_amdhsa_kernel
	.section	.text._ZN9rocsparseL51gtsv_nopivot_strided_batch_crpcr_pow2_shared_kernelILj256ELj64EfEEviiiPKT1_S3_S3_PS1_,"axG",@progbits,_ZN9rocsparseL51gtsv_nopivot_strided_batch_crpcr_pow2_shared_kernelILj256ELj64EfEEviiiPKT1_S3_S3_PS1_,comdat
.Lfunc_end8:
	.size	_ZN9rocsparseL51gtsv_nopivot_strided_batch_crpcr_pow2_shared_kernelILj256ELj64EfEEviiiPKT1_S3_S3_PS1_, .Lfunc_end8-_ZN9rocsparseL51gtsv_nopivot_strided_batch_crpcr_pow2_shared_kernelILj256ELj64EfEEviiiPKT1_S3_S3_PS1_
                                        ; -- End function
	.section	.AMDGPU.csdata,"",@progbits
; Kernel info:
; codeLenInByte = 4208
; NumSgprs: 20
; NumVgprs: 29
; NumAgprs: 0
; TotalNumVgprs: 29
; ScratchSize: 0
; MemoryBound: 0
; FloatMode: 240
; IeeeMode: 1
; LDSByteSize: 11520 bytes/workgroup (compile time only)
; SGPRBlocks: 2
; VGPRBlocks: 3
; NumSGPRsForWavesPerEU: 20
; NumVGPRsForWavesPerEU: 29
; AccumOffset: 32
; Occupancy: 5
; WaveLimiterHint : 0
; COMPUTE_PGM_RSRC2:SCRATCH_EN: 0
; COMPUTE_PGM_RSRC2:USER_SGPR: 6
; COMPUTE_PGM_RSRC2:TRAP_HANDLER: 0
; COMPUTE_PGM_RSRC2:TGID_X_EN: 1
; COMPUTE_PGM_RSRC2:TGID_Y_EN: 0
; COMPUTE_PGM_RSRC2:TGID_Z_EN: 0
; COMPUTE_PGM_RSRC2:TIDIG_COMP_CNT: 0
; COMPUTE_PGM_RSRC3_GFX90A:ACCUM_OFFSET: 7
; COMPUTE_PGM_RSRC3_GFX90A:TG_SPLIT: 0
	.section	.text._ZN9rocsparseL44gtsv_nopivot_strided_batch_pcr_shared_kernelILj4EfEEviiiPKT0_S3_S3_PS1_,"axG",@progbits,_ZN9rocsparseL44gtsv_nopivot_strided_batch_pcr_shared_kernelILj4EfEEviiiPKT0_S3_S3_PS1_,comdat
	.globl	_ZN9rocsparseL44gtsv_nopivot_strided_batch_pcr_shared_kernelILj4EfEEviiiPKT0_S3_S3_PS1_ ; -- Begin function _ZN9rocsparseL44gtsv_nopivot_strided_batch_pcr_shared_kernelILj4EfEEviiiPKT0_S3_S3_PS1_
	.p2align	8
	.type	_ZN9rocsparseL44gtsv_nopivot_strided_batch_pcr_shared_kernelILj4EfEEviiiPKT0_S3_S3_PS1_,@function
_ZN9rocsparseL44gtsv_nopivot_strided_batch_pcr_shared_kernelILj4EfEEviiiPKT0_S3_S3_PS1_: ; @_ZN9rocsparseL44gtsv_nopivot_strided_batch_pcr_shared_kernelILj4EfEEviiiPKT0_S3_S3_PS1_
; %bb.0:
	s_load_dword s0, s[4:5], 0x8
	s_load_dword s8, s[4:5], 0x0
	v_mov_b32_e32 v4, 0
	v_mov_b32_e32 v5, 0
	s_waitcnt lgkmcnt(0)
	s_mul_i32 s6, s6, s0
	v_add_u32_e32 v2, s6, v0
	v_cmp_gt_i32_e64 s[0:1], s8, v0
	v_ashrrev_i32_e32 v3, 31, v2
	s_and_saveexec_b64 s[2:3], s[0:1]
	s_cbranch_execz .LBB9_2
; %bb.1:
	s_load_dwordx2 s[6:7], s[4:5], 0x10
	v_lshlrev_b64 v[6:7], 2, v[2:3]
	s_waitcnt lgkmcnt(0)
	v_mov_b32_e32 v1, s7
	v_add_co_u32_e32 v6, vcc, s6, v6
	v_addc_co_u32_e32 v7, vcc, v1, v7, vcc
	global_load_dword v5, v[6:7], off
.LBB9_2:
	s_or_b64 exec, exec, s[2:3]
	v_lshlrev_b32_e32 v1, 2, v0
	s_waitcnt vmcnt(0)
	ds_write_b32 v1, v5
	s_and_saveexec_b64 s[2:3], s[0:1]
	s_cbranch_execz .LBB9_4
; %bb.3:
	s_load_dwordx2 s[6:7], s[4:5], 0x18
	v_lshlrev_b64 v[4:5], 2, v[2:3]
	s_waitcnt lgkmcnt(0)
	v_mov_b32_e32 v6, s7
	v_add_co_u32_e32 v4, vcc, s6, v4
	v_addc_co_u32_e32 v5, vcc, v6, v5, vcc
	global_load_dword v4, v[4:5], off
.LBB9_4:
	s_or_b64 exec, exec, s[2:3]
	s_load_dwordx2 s[2:3], s[4:5], 0x28
	v_mov_b32_e32 v6, 0
	v_mov_b32_e32 v7, 0
	s_waitcnt vmcnt(0)
	ds_write_b32 v1, v4 offset:16
	s_and_saveexec_b64 s[6:7], s[0:1]
	s_cbranch_execz .LBB9_6
; %bb.5:
	s_load_dwordx2 s[4:5], s[4:5], 0x20
	v_lshlrev_b64 v[4:5], 2, v[2:3]
	s_waitcnt lgkmcnt(0)
	v_mov_b32_e32 v7, s5
	v_add_co_u32_e32 v4, vcc, s4, v4
	v_addc_co_u32_e32 v5, vcc, v7, v5, vcc
	global_load_dword v7, v[4:5], off
.LBB9_6:
	s_or_b64 exec, exec, s[6:7]
	v_or_b32_e32 v4, 16, v1
	v_or_b32_e32 v5, 32, v1
	s_waitcnt vmcnt(0)
	ds_write_b32 v1, v7 offset:32
	s_and_saveexec_b64 s[4:5], s[0:1]
	s_cbranch_execz .LBB9_8
; %bb.7:
	v_lshlrev_b64 v[6:7], 2, v[2:3]
	s_waitcnt lgkmcnt(0)
	v_mov_b32_e32 v8, s3
	v_add_co_u32_e32 v6, vcc, s2, v6
	v_addc_co_u32_e32 v7, vcc, v8, v7, vcc
	global_load_dword v6, v[6:7], off
.LBB9_8:
	s_or_b64 exec, exec, s[4:5]
	s_waitcnt vmcnt(0)
	ds_write_b32 v1, v6 offset:64
	s_waitcnt lgkmcnt(0)
	; wave barrier
	s_waitcnt lgkmcnt(0)
	ds_read_b32 v10, v1
	v_max_u32_e32 v6, 1, v0
	v_lshlrev_b32_e32 v9, 2, v6
	v_add_u32_e32 v11, -4, v9
	ds_read2_b32 v[6:7], v9 offset0:3 offset1:7
	ds_read_b32 v12, v5
	ds_read_b32 v13, v4
	;; [unrolled: 1-line block ×3, first 2 shown]
	ds_read_b32 v15, v9 offset:60
	ds_read_b32 v16, v1 offset:64
	s_waitcnt lgkmcnt(5)
	v_div_scale_f32 v11, s[4:5], v6, v6, v10
	v_rcp_f32_e32 v17, v11
	s_add_i32 s6, s8, -1
	v_add_u32_e32 v8, 1, v0
	v_mov_b32_e32 v9, s6
	v_cmp_gt_i32_e32 vcc, s8, v8
	v_cndmask_b32_e32 v8, v9, v8, vcc
	v_fma_f32 v9, -v11, v17, 1.0
	v_lshlrev_b32_e32 v20, 2, v8
	v_fmac_f32_e32 v17, v9, v17
	ds_read2_b32 v[8:9], v20 offset1:4
	v_div_scale_f32 v18, vcc, v10, v6, v10
	v_mul_f32_e32 v19, v18, v17
	v_fma_f32 v21, -v11, v19, v18
	v_fmac_f32_e32 v19, v21, v17
	v_fma_f32 v11, -v11, v19, v18
	s_waitcnt lgkmcnt(0)
	v_div_scale_f32 v18, s[4:5], v9, v9, v12
	v_rcp_f32_e32 v21, v18
	v_div_fmas_f32 v11, v11, v17, v19
	v_div_fixup_f32 v6, v11, v6, v10
	ds_read2_b32 v[10:11], v20 offset0:8 offset1:16
	v_fma_f32 v17, -v18, v21, 1.0
	v_fmac_f32_e32 v21, v17, v21
	v_div_scale_f32 v17, vcc, v12, v9, v12
	v_mul_f32_e32 v19, v17, v21
	v_fma_f32 v20, -v18, v19, v17
	v_fmac_f32_e32 v19, v20, v21
	v_fma_f32 v17, -v18, v19, v17
	v_div_fmas_f32 v17, v17, v21, v19
	v_div_fixup_f32 v9, v17, v9, v12
	v_fma_f32 v7, -v6, v7, v13
	v_fma_f32 v7, -v9, v8, v7
	;; [unrolled: 1-line block ×3, first 2 shown]
	v_cmp_gt_u32_e32 vcc, 2, v0
	s_waitcnt lgkmcnt(0)
	v_fma_f32 v8, -v9, v11, v8
	v_mul_f32_e64 v6, v6, -v14
	v_mul_f32_e64 v9, v9, -v10
	s_waitcnt lgkmcnt(0)
	; wave barrier
	ds_write_b32 v4, v7
	ds_write_b32 v1, v8 offset:64
	ds_write_b32 v1, v6
	ds_write_b32 v5, v9
	s_waitcnt lgkmcnt(0)
	; wave barrier
	s_waitcnt lgkmcnt(0)
	s_and_saveexec_b64 s[4:5], vcc
	s_cbranch_execz .LBB9_14
; %bb.9:
	v_or_b32_e32 v6, 2, v0
	v_or_b32_e32 v7, 64, v1
	v_cmp_le_i32_e32 vcc, s8, v6
                                        ; implicit-def: $vgpr8
	s_and_saveexec_b64 s[6:7], vcc
	s_xor_b64 s[6:7], exec, s[6:7]
	s_cbranch_execz .LBB9_11
; %bb.10:
	ds_read_b32 v5, v7
	ds_read_b32 v4, v4
	s_waitcnt lgkmcnt(0)
	v_div_scale_f32 v6, s[8:9], v4, v4, v5
	v_rcp_f32_e32 v7, v6
	v_div_scale_f32 v8, vcc, v5, v4, v5
	v_fma_f32 v9, -v6, v7, 1.0
	v_fmac_f32_e32 v7, v9, v7
	v_mul_f32_e32 v9, v8, v7
	v_fma_f32 v10, -v6, v9, v8
	v_fmac_f32_e32 v9, v10, v7
	v_fma_f32 v6, -v6, v9, v8
	v_div_fmas_f32 v6, v6, v7, v9
	v_div_fixup_f32 v8, v6, v4, v5
                                        ; implicit-def: $vgpr4
                                        ; implicit-def: $vgpr5
                                        ; implicit-def: $vgpr7
                                        ; implicit-def: $vgpr6
.LBB9_11:
	s_andn2_saveexec_b64 s[6:7], s[6:7]
	s_cbranch_execz .LBB9_13
; %bb.12:
	ds_read_b32 v0, v5
	ds_read_b32 v10, v1 offset:8
	ds_read2_b32 v[4:5], v4 offset1:2
	s_waitcnt lgkmcnt(1)
	v_mul_f32_e32 v8, v0, v10
	s_waitcnt lgkmcnt(0)
	v_fma_f32 v11, v5, v4, -v8
	v_div_scale_f32 v12, s[8:9], v11, v11, 1.0
	v_rcp_f32_e32 v13, v12
	ds_read2_b32 v[8:9], v7 offset1:2
	v_div_scale_f32 v7, vcc, 1.0, v11, 1.0
	v_fma_f32 v14, -v12, v13, 1.0
	v_fmac_f32_e32 v13, v14, v13
	v_mul_f32_e32 v14, v7, v13
	v_fma_f32 v15, -v12, v14, v7
	v_fmac_f32_e32 v14, v15, v13
	v_fma_f32 v7, -v12, v14, v7
	v_div_fmas_f32 v7, v7, v13, v14
	s_waitcnt lgkmcnt(0)
	v_mul_f32_e32 v0, v0, v9
	v_div_fixup_f32 v7, v7, v11, 1.0
	v_fma_f32 v0, v5, v8, -v0
	v_mul_f32_e32 v0, v7, v0
	ds_write_b32 v1, v0 offset:48
	v_mul_f32_e32 v0, v10, v8
	v_fma_f32 v0, v4, v9, -v0
	v_mul_f32_e32 v8, v7, v0
	v_mov_b32_e32 v0, v6
.LBB9_13:
	s_or_b64 exec, exec, s[6:7]
	v_lshlrev_b32_e32 v0, 2, v0
	ds_write_b32 v0, v8 offset:48
.LBB9_14:
	s_or_b64 exec, exec, s[4:5]
	s_waitcnt lgkmcnt(0)
	; wave barrier
	s_waitcnt lgkmcnt(0)
	s_and_saveexec_b64 s[4:5], s[0:1]
	s_cbranch_execz .LBB9_16
; %bb.15:
	ds_read_b32 v5, v1 offset:48
	v_lshlrev_b64 v[2:3], 2, v[2:3]
	v_mov_b32_e32 v4, s3
	v_add_co_u32_e32 v0, vcc, s2, v2
	v_addc_co_u32_e32 v1, vcc, v4, v3, vcc
	s_waitcnt lgkmcnt(0)
	global_store_dword v[0:1], v5, off
.LBB9_16:
	s_endpgm
	.section	.rodata,"a",@progbits
	.p2align	6, 0x0
	.amdhsa_kernel _ZN9rocsparseL44gtsv_nopivot_strided_batch_pcr_shared_kernelILj4EfEEviiiPKT0_S3_S3_PS1_
		.amdhsa_group_segment_fixed_size 80
		.amdhsa_private_segment_fixed_size 0
		.amdhsa_kernarg_size 48
		.amdhsa_user_sgpr_count 6
		.amdhsa_user_sgpr_private_segment_buffer 1
		.amdhsa_user_sgpr_dispatch_ptr 0
		.amdhsa_user_sgpr_queue_ptr 0
		.amdhsa_user_sgpr_kernarg_segment_ptr 1
		.amdhsa_user_sgpr_dispatch_id 0
		.amdhsa_user_sgpr_flat_scratch_init 0
		.amdhsa_user_sgpr_kernarg_preload_length 0
		.amdhsa_user_sgpr_kernarg_preload_offset 0
		.amdhsa_user_sgpr_private_segment_size 0
		.amdhsa_uses_dynamic_stack 0
		.amdhsa_system_sgpr_private_segment_wavefront_offset 0
		.amdhsa_system_sgpr_workgroup_id_x 1
		.amdhsa_system_sgpr_workgroup_id_y 0
		.amdhsa_system_sgpr_workgroup_id_z 0
		.amdhsa_system_sgpr_workgroup_info 0
		.amdhsa_system_vgpr_workitem_id 0
		.amdhsa_next_free_vgpr 22
		.amdhsa_next_free_sgpr 10
		.amdhsa_accum_offset 24
		.amdhsa_reserve_vcc 1
		.amdhsa_reserve_flat_scratch 0
		.amdhsa_float_round_mode_32 0
		.amdhsa_float_round_mode_16_64 0
		.amdhsa_float_denorm_mode_32 3
		.amdhsa_float_denorm_mode_16_64 3
		.amdhsa_dx10_clamp 1
		.amdhsa_ieee_mode 1
		.amdhsa_fp16_overflow 0
		.amdhsa_tg_split 0
		.amdhsa_exception_fp_ieee_invalid_op 0
		.amdhsa_exception_fp_denorm_src 0
		.amdhsa_exception_fp_ieee_div_zero 0
		.amdhsa_exception_fp_ieee_overflow 0
		.amdhsa_exception_fp_ieee_underflow 0
		.amdhsa_exception_fp_ieee_inexact 0
		.amdhsa_exception_int_div_zero 0
	.end_amdhsa_kernel
	.section	.text._ZN9rocsparseL44gtsv_nopivot_strided_batch_pcr_shared_kernelILj4EfEEviiiPKT0_S3_S3_PS1_,"axG",@progbits,_ZN9rocsparseL44gtsv_nopivot_strided_batch_pcr_shared_kernelILj4EfEEviiiPKT0_S3_S3_PS1_,comdat
.Lfunc_end9:
	.size	_ZN9rocsparseL44gtsv_nopivot_strided_batch_pcr_shared_kernelILj4EfEEviiiPKT0_S3_S3_PS1_, .Lfunc_end9-_ZN9rocsparseL44gtsv_nopivot_strided_batch_pcr_shared_kernelILj4EfEEviiiPKT0_S3_S3_PS1_
                                        ; -- End function
	.section	.AMDGPU.csdata,"",@progbits
; Kernel info:
; codeLenInByte = 1076
; NumSgprs: 14
; NumVgprs: 22
; NumAgprs: 0
; TotalNumVgprs: 22
; ScratchSize: 0
; MemoryBound: 0
; FloatMode: 240
; IeeeMode: 1
; LDSByteSize: 80 bytes/workgroup (compile time only)
; SGPRBlocks: 1
; VGPRBlocks: 2
; NumSGPRsForWavesPerEU: 14
; NumVGPRsForWavesPerEU: 22
; AccumOffset: 24
; Occupancy: 8
; WaveLimiterHint : 0
; COMPUTE_PGM_RSRC2:SCRATCH_EN: 0
; COMPUTE_PGM_RSRC2:USER_SGPR: 6
; COMPUTE_PGM_RSRC2:TRAP_HANDLER: 0
; COMPUTE_PGM_RSRC2:TGID_X_EN: 1
; COMPUTE_PGM_RSRC2:TGID_Y_EN: 0
; COMPUTE_PGM_RSRC2:TGID_Z_EN: 0
; COMPUTE_PGM_RSRC2:TIDIG_COMP_CNT: 0
; COMPUTE_PGM_RSRC3_GFX90A:ACCUM_OFFSET: 5
; COMPUTE_PGM_RSRC3_GFX90A:TG_SPLIT: 0
	.section	.text._ZN9rocsparseL44gtsv_nopivot_strided_batch_pcr_shared_kernelILj8EfEEviiiPKT0_S3_S3_PS1_,"axG",@progbits,_ZN9rocsparseL44gtsv_nopivot_strided_batch_pcr_shared_kernelILj8EfEEviiiPKT0_S3_S3_PS1_,comdat
	.globl	_ZN9rocsparseL44gtsv_nopivot_strided_batch_pcr_shared_kernelILj8EfEEviiiPKT0_S3_S3_PS1_ ; -- Begin function _ZN9rocsparseL44gtsv_nopivot_strided_batch_pcr_shared_kernelILj8EfEEviiiPKT0_S3_S3_PS1_
	.p2align	8
	.type	_ZN9rocsparseL44gtsv_nopivot_strided_batch_pcr_shared_kernelILj8EfEEviiiPKT0_S3_S3_PS1_,@function
_ZN9rocsparseL44gtsv_nopivot_strided_batch_pcr_shared_kernelILj8EfEEviiiPKT0_S3_S3_PS1_: ; @_ZN9rocsparseL44gtsv_nopivot_strided_batch_pcr_shared_kernelILj8EfEEviiiPKT0_S3_S3_PS1_
; %bb.0:
	s_load_dword s0, s[4:5], 0x8
	s_load_dword s8, s[4:5], 0x0
	v_mov_b32_e32 v4, 0
	v_mov_b32_e32 v5, 0
	s_waitcnt lgkmcnt(0)
	s_mul_i32 s6, s6, s0
	v_add_u32_e32 v2, s6, v0
	v_cmp_gt_i32_e64 s[0:1], s8, v0
	v_ashrrev_i32_e32 v3, 31, v2
	s_and_saveexec_b64 s[2:3], s[0:1]
	s_cbranch_execz .LBB10_2
; %bb.1:
	s_load_dwordx2 s[6:7], s[4:5], 0x10
	v_lshlrev_b64 v[6:7], 2, v[2:3]
	s_waitcnt lgkmcnt(0)
	v_mov_b32_e32 v1, s7
	v_add_co_u32_e32 v6, vcc, s6, v6
	v_addc_co_u32_e32 v7, vcc, v1, v7, vcc
	global_load_dword v5, v[6:7], off
.LBB10_2:
	s_or_b64 exec, exec, s[2:3]
	v_lshlrev_b32_e32 v1, 2, v0
	s_waitcnt vmcnt(0)
	ds_write_b32 v1, v5
	s_and_saveexec_b64 s[2:3], s[0:1]
	s_cbranch_execz .LBB10_4
; %bb.3:
	s_load_dwordx2 s[6:7], s[4:5], 0x18
	v_lshlrev_b64 v[4:5], 2, v[2:3]
	s_waitcnt lgkmcnt(0)
	v_mov_b32_e32 v6, s7
	v_add_co_u32_e32 v4, vcc, s6, v4
	v_addc_co_u32_e32 v5, vcc, v6, v5, vcc
	global_load_dword v4, v[4:5], off
.LBB10_4:
	s_or_b64 exec, exec, s[2:3]
	s_load_dwordx2 s[2:3], s[4:5], 0x28
	v_mov_b32_e32 v6, 0
	v_mov_b32_e32 v7, 0
	s_waitcnt vmcnt(0)
	ds_write_b32 v1, v4 offset:32
	s_and_saveexec_b64 s[6:7], s[0:1]
	s_cbranch_execz .LBB10_6
; %bb.5:
	s_load_dwordx2 s[4:5], s[4:5], 0x20
	v_lshlrev_b64 v[4:5], 2, v[2:3]
	s_waitcnt lgkmcnt(0)
	v_mov_b32_e32 v7, s5
	v_add_co_u32_e32 v4, vcc, s4, v4
	v_addc_co_u32_e32 v5, vcc, v7, v5, vcc
	global_load_dword v7, v[4:5], off
.LBB10_6:
	s_or_b64 exec, exec, s[6:7]
	v_or_b32_e32 v4, 32, v1
	v_or_b32_e32 v5, 64, v1
	s_waitcnt vmcnt(0)
	ds_write_b32 v1, v7 offset:64
	s_and_saveexec_b64 s[4:5], s[0:1]
	s_cbranch_execz .LBB10_8
; %bb.7:
	v_lshlrev_b64 v[6:7], 2, v[2:3]
	s_waitcnt lgkmcnt(0)
	v_mov_b32_e32 v8, s3
	v_add_co_u32_e32 v6, vcc, s2, v6
	v_addc_co_u32_e32 v7, vcc, v8, v7, vcc
	global_load_dword v6, v[6:7], off
.LBB10_8:
	s_or_b64 exec, exec, s[4:5]
	s_waitcnt vmcnt(0)
	ds_write_b32 v1, v6 offset:128
	v_max_u32_e32 v6, 1, v0
	v_lshlrev_b32_e32 v9, 2, v6
	v_add_u32_e32 v10, -4, v9
	s_waitcnt lgkmcnt(0)
	; wave barrier
	s_waitcnt lgkmcnt(0)
	ds_read2_b32 v[6:7], v9 offset0:7 offset1:15
	ds_read_b32 v11, v1
	ds_read_b32 v12, v1 offset:128
	ds_read_b32 v13, v9 offset:124
	ds_read_b32 v14, v5
	ds_read_b32 v15, v4
	;; [unrolled: 1-line block ×3, first 2 shown]
	s_waitcnt lgkmcnt(5)
	v_div_scale_f32 v10, s[4:5], v6, v6, v11
	v_rcp_f32_e32 v17, v10
	s_add_i32 s6, s8, -1
	v_add_u32_e32 v8, 1, v0
	v_mov_b32_e32 v18, s6
	v_cmp_gt_i32_e32 vcc, s8, v8
	v_cndmask_b32_e32 v8, v18, v8, vcc
	v_fma_f32 v9, -v10, v17, 1.0
	v_lshlrev_b32_e32 v21, 2, v8
	v_fmac_f32_e32 v17, v9, v17
	ds_read2_b32 v[8:9], v21 offset1:8
	v_div_scale_f32 v19, vcc, v11, v6, v11
	v_mul_f32_e32 v20, v19, v17
	v_fma_f32 v22, -v10, v20, v19
	v_fmac_f32_e32 v20, v22, v17
	v_fma_f32 v10, -v10, v20, v19
	s_waitcnt lgkmcnt(0)
	v_div_scale_f32 v19, s[4:5], v9, v9, v14
	v_rcp_f32_e32 v22, v19
	v_div_fmas_f32 v10, v10, v17, v20
	v_div_fixup_f32 v6, v10, v6, v11
	v_fma_f32 v7, -v6, v7, v15
	v_fma_f32 v10, -v19, v22, 1.0
	v_fmac_f32_e32 v22, v10, v22
	v_div_scale_f32 v10, vcc, v14, v9, v14
	v_mul_f32_e32 v11, v10, v22
	v_fma_f32 v17, -v19, v11, v10
	v_fmac_f32_e32 v11, v17, v22
	v_fma_f32 v10, -v19, v11, v10
	v_div_fmas_f32 v17, v10, v22, v11
	ds_read2_b32 v[10:11], v21 offset0:16 offset1:32
	v_div_fixup_f32 v9, v17, v9, v14
	v_fma_f32 v7, -v9, v8, v7
	v_fma_f32 v8, -v6, v13, v12
	v_mul_f32_e64 v6, v6, -v16
	s_waitcnt lgkmcnt(0)
	v_fma_f32 v8, -v9, v11, v8
	v_mul_f32_e64 v9, v9, -v10
	s_waitcnt lgkmcnt(0)
	; wave barrier
	ds_write_b32 v4, v7
	ds_write_b32 v1, v8 offset:128
	ds_write_b32 v1, v6
	ds_write_b32 v5, v9
	v_max_u32_e32 v6, 2, v0
	v_lshlrev_b32_e32 v8, 2, v6
	s_waitcnt lgkmcnt(0)
	; wave barrier
	s_waitcnt lgkmcnt(0)
	v_add_u32_e32 v9, -8, v8
	ds_read2_b32 v[6:7], v8 offset0:6 offset1:14
	ds_read_b32 v10, v1
	ds_read_b32 v12, v1 offset:128
	ds_read_b32 v13, v8 offset:120
	ds_read_b32 v14, v5
	ds_read_b32 v15, v4
	;; [unrolled: 1-line block ×3, first 2 shown]
	s_waitcnt lgkmcnt(5)
	v_div_scale_f32 v11, s[4:5], v6, v6, v10
	v_rcp_f32_e32 v17, v11
	v_add_u32_e32 v8, 2, v0
	v_cmp_gt_i32_e32 vcc, s8, v8
	v_cndmask_b32_e32 v8, v18, v8, vcc
	v_fma_f32 v9, -v11, v17, 1.0
	v_lshlrev_b32_e32 v20, 2, v8
	v_fmac_f32_e32 v17, v9, v17
	ds_read2_b32 v[8:9], v20 offset1:8
	v_div_scale_f32 v18, vcc, v10, v6, v10
	v_mul_f32_e32 v19, v18, v17
	v_fma_f32 v21, -v11, v19, v18
	v_fmac_f32_e32 v19, v21, v17
	v_fma_f32 v11, -v11, v19, v18
	s_waitcnt lgkmcnt(0)
	v_div_scale_f32 v18, s[4:5], v9, v9, v14
	v_rcp_f32_e32 v21, v18
	v_div_fmas_f32 v11, v11, v17, v19
	v_div_fixup_f32 v6, v11, v6, v10
	v_fma_f32 v7, -v6, v7, v15
	v_fma_f32 v10, -v18, v21, 1.0
	v_fmac_f32_e32 v21, v10, v21
	v_div_scale_f32 v10, vcc, v14, v9, v14
	v_mul_f32_e32 v11, v10, v21
	v_fma_f32 v17, -v18, v11, v10
	v_fmac_f32_e32 v11, v17, v21
	v_fma_f32 v10, -v18, v11, v10
	v_div_fmas_f32 v17, v10, v21, v11
	ds_read2_b32 v[10:11], v20 offset0:16 offset1:32
	v_div_fixup_f32 v9, v17, v9, v14
	v_fma_f32 v7, -v9, v8, v7
	v_fma_f32 v8, -v6, v13, v12
	v_cmp_gt_u32_e32 vcc, 4, v0
	s_waitcnt lgkmcnt(0)
	v_fma_f32 v8, -v9, v11, v8
	v_mul_f32_e64 v6, v6, -v16
	v_mul_f32_e64 v9, v9, -v10
	s_waitcnt lgkmcnt(0)
	; wave barrier
	ds_write_b32 v4, v7
	ds_write_b32 v1, v8 offset:128
	ds_write_b32 v1, v6
	ds_write_b32 v5, v9
	s_waitcnt lgkmcnt(0)
	; wave barrier
	s_waitcnt lgkmcnt(0)
	s_and_saveexec_b64 s[4:5], vcc
	s_cbranch_execz .LBB10_14
; %bb.9:
	v_or_b32_e32 v6, 4, v0
	v_or_b32_e32 v7, 0x80, v1
	v_cmp_le_i32_e32 vcc, s8, v6
                                        ; implicit-def: $vgpr8
	s_and_saveexec_b64 s[6:7], vcc
	s_xor_b64 s[6:7], exec, s[6:7]
	s_cbranch_execz .LBB10_11
; %bb.10:
	ds_read_b32 v5, v7
	ds_read_b32 v4, v4
	s_waitcnt lgkmcnt(0)
	v_div_scale_f32 v6, s[8:9], v4, v4, v5
	v_rcp_f32_e32 v7, v6
	v_div_scale_f32 v8, vcc, v5, v4, v5
	v_fma_f32 v9, -v6, v7, 1.0
	v_fmac_f32_e32 v7, v9, v7
	v_mul_f32_e32 v9, v8, v7
	v_fma_f32 v10, -v6, v9, v8
	v_fmac_f32_e32 v9, v10, v7
	v_fma_f32 v6, -v6, v9, v8
	v_div_fmas_f32 v6, v6, v7, v9
	v_div_fixup_f32 v8, v6, v4, v5
                                        ; implicit-def: $vgpr4
                                        ; implicit-def: $vgpr5
                                        ; implicit-def: $vgpr7
                                        ; implicit-def: $vgpr6
.LBB10_11:
	s_andn2_saveexec_b64 s[6:7], s[6:7]
	s_cbranch_execz .LBB10_13
; %bb.12:
	ds_read_b32 v0, v5
	ds_read_b32 v10, v1 offset:16
	ds_read2_b32 v[4:5], v4 offset1:4
	s_waitcnt lgkmcnt(1)
	v_mul_f32_e32 v8, v0, v10
	s_waitcnt lgkmcnt(0)
	v_fma_f32 v11, v5, v4, -v8
	v_div_scale_f32 v12, s[8:9], v11, v11, 1.0
	v_rcp_f32_e32 v13, v12
	ds_read2_b32 v[8:9], v7 offset1:4
	v_div_scale_f32 v7, vcc, 1.0, v11, 1.0
	v_fma_f32 v14, -v12, v13, 1.0
	v_fmac_f32_e32 v13, v14, v13
	v_mul_f32_e32 v14, v7, v13
	v_fma_f32 v15, -v12, v14, v7
	v_fmac_f32_e32 v14, v15, v13
	v_fma_f32 v7, -v12, v14, v7
	v_div_fmas_f32 v7, v7, v13, v14
	s_waitcnt lgkmcnt(0)
	v_mul_f32_e32 v0, v0, v9
	v_div_fixup_f32 v7, v7, v11, 1.0
	v_fma_f32 v0, v5, v8, -v0
	v_mul_f32_e32 v0, v7, v0
	ds_write_b32 v1, v0 offset:96
	v_mul_f32_e32 v0, v10, v8
	v_fma_f32 v0, v4, v9, -v0
	v_mul_f32_e32 v8, v7, v0
	v_mov_b32_e32 v0, v6
.LBB10_13:
	s_or_b64 exec, exec, s[6:7]
	v_lshlrev_b32_e32 v0, 2, v0
	ds_write_b32 v0, v8 offset:96
.LBB10_14:
	s_or_b64 exec, exec, s[4:5]
	s_waitcnt lgkmcnt(0)
	; wave barrier
	s_waitcnt lgkmcnt(0)
	s_and_saveexec_b64 s[4:5], s[0:1]
	s_cbranch_execz .LBB10_16
; %bb.15:
	ds_read_b32 v5, v1 offset:96
	v_lshlrev_b64 v[2:3], 2, v[2:3]
	v_mov_b32_e32 v4, s3
	v_add_co_u32_e32 v0, vcc, s2, v2
	v_addc_co_u32_e32 v1, vcc, v4, v3, vcc
	s_waitcnt lgkmcnt(0)
	global_store_dword v[0:1], v5, off
.LBB10_16:
	s_endpgm
	.section	.rodata,"a",@progbits
	.p2align	6, 0x0
	.amdhsa_kernel _ZN9rocsparseL44gtsv_nopivot_strided_batch_pcr_shared_kernelILj8EfEEviiiPKT0_S3_S3_PS1_
		.amdhsa_group_segment_fixed_size 160
		.amdhsa_private_segment_fixed_size 0
		.amdhsa_kernarg_size 48
		.amdhsa_user_sgpr_count 6
		.amdhsa_user_sgpr_private_segment_buffer 1
		.amdhsa_user_sgpr_dispatch_ptr 0
		.amdhsa_user_sgpr_queue_ptr 0
		.amdhsa_user_sgpr_kernarg_segment_ptr 1
		.amdhsa_user_sgpr_dispatch_id 0
		.amdhsa_user_sgpr_flat_scratch_init 0
		.amdhsa_user_sgpr_kernarg_preload_length 0
		.amdhsa_user_sgpr_kernarg_preload_offset 0
		.amdhsa_user_sgpr_private_segment_size 0
		.amdhsa_uses_dynamic_stack 0
		.amdhsa_system_sgpr_private_segment_wavefront_offset 0
		.amdhsa_system_sgpr_workgroup_id_x 1
		.amdhsa_system_sgpr_workgroup_id_y 0
		.amdhsa_system_sgpr_workgroup_id_z 0
		.amdhsa_system_sgpr_workgroup_info 0
		.amdhsa_system_vgpr_workitem_id 0
		.amdhsa_next_free_vgpr 23
		.amdhsa_next_free_sgpr 10
		.amdhsa_accum_offset 24
		.amdhsa_reserve_vcc 1
		.amdhsa_reserve_flat_scratch 0
		.amdhsa_float_round_mode_32 0
		.amdhsa_float_round_mode_16_64 0
		.amdhsa_float_denorm_mode_32 3
		.amdhsa_float_denorm_mode_16_64 3
		.amdhsa_dx10_clamp 1
		.amdhsa_ieee_mode 1
		.amdhsa_fp16_overflow 0
		.amdhsa_tg_split 0
		.amdhsa_exception_fp_ieee_invalid_op 0
		.amdhsa_exception_fp_denorm_src 0
		.amdhsa_exception_fp_ieee_div_zero 0
		.amdhsa_exception_fp_ieee_overflow 0
		.amdhsa_exception_fp_ieee_underflow 0
		.amdhsa_exception_fp_ieee_inexact 0
		.amdhsa_exception_int_div_zero 0
	.end_amdhsa_kernel
	.section	.text._ZN9rocsparseL44gtsv_nopivot_strided_batch_pcr_shared_kernelILj8EfEEviiiPKT0_S3_S3_PS1_,"axG",@progbits,_ZN9rocsparseL44gtsv_nopivot_strided_batch_pcr_shared_kernelILj8EfEEviiiPKT0_S3_S3_PS1_,comdat
.Lfunc_end10:
	.size	_ZN9rocsparseL44gtsv_nopivot_strided_batch_pcr_shared_kernelILj8EfEEviiiPKT0_S3_S3_PS1_, .Lfunc_end10-_ZN9rocsparseL44gtsv_nopivot_strided_batch_pcr_shared_kernelILj8EfEEviiiPKT0_S3_S3_PS1_
                                        ; -- End function
	.section	.AMDGPU.csdata,"",@progbits
; Kernel info:
; codeLenInByte = 1428
; NumSgprs: 14
; NumVgprs: 23
; NumAgprs: 0
; TotalNumVgprs: 23
; ScratchSize: 0
; MemoryBound: 0
; FloatMode: 240
; IeeeMode: 1
; LDSByteSize: 160 bytes/workgroup (compile time only)
; SGPRBlocks: 1
; VGPRBlocks: 2
; NumSGPRsForWavesPerEU: 14
; NumVGPRsForWavesPerEU: 23
; AccumOffset: 24
; Occupancy: 8
; WaveLimiterHint : 0
; COMPUTE_PGM_RSRC2:SCRATCH_EN: 0
; COMPUTE_PGM_RSRC2:USER_SGPR: 6
; COMPUTE_PGM_RSRC2:TRAP_HANDLER: 0
; COMPUTE_PGM_RSRC2:TGID_X_EN: 1
; COMPUTE_PGM_RSRC2:TGID_Y_EN: 0
; COMPUTE_PGM_RSRC2:TGID_Z_EN: 0
; COMPUTE_PGM_RSRC2:TIDIG_COMP_CNT: 0
; COMPUTE_PGM_RSRC3_GFX90A:ACCUM_OFFSET: 5
; COMPUTE_PGM_RSRC3_GFX90A:TG_SPLIT: 0
	.section	.text._ZN9rocsparseL44gtsv_nopivot_strided_batch_pcr_shared_kernelILj16EfEEviiiPKT0_S3_S3_PS1_,"axG",@progbits,_ZN9rocsparseL44gtsv_nopivot_strided_batch_pcr_shared_kernelILj16EfEEviiiPKT0_S3_S3_PS1_,comdat
	.globl	_ZN9rocsparseL44gtsv_nopivot_strided_batch_pcr_shared_kernelILj16EfEEviiiPKT0_S3_S3_PS1_ ; -- Begin function _ZN9rocsparseL44gtsv_nopivot_strided_batch_pcr_shared_kernelILj16EfEEviiiPKT0_S3_S3_PS1_
	.p2align	8
	.type	_ZN9rocsparseL44gtsv_nopivot_strided_batch_pcr_shared_kernelILj16EfEEviiiPKT0_S3_S3_PS1_,@function
_ZN9rocsparseL44gtsv_nopivot_strided_batch_pcr_shared_kernelILj16EfEEviiiPKT0_S3_S3_PS1_: ; @_ZN9rocsparseL44gtsv_nopivot_strided_batch_pcr_shared_kernelILj16EfEEviiiPKT0_S3_S3_PS1_
; %bb.0:
	s_load_dword s0, s[4:5], 0x8
	s_load_dword s8, s[4:5], 0x0
	v_mov_b32_e32 v4, 0
	v_mov_b32_e32 v5, 0
	s_waitcnt lgkmcnt(0)
	s_mul_i32 s6, s6, s0
	v_add_u32_e32 v2, s6, v0
	v_cmp_gt_i32_e64 s[0:1], s8, v0
	v_ashrrev_i32_e32 v3, 31, v2
	s_and_saveexec_b64 s[2:3], s[0:1]
	s_cbranch_execz .LBB11_2
; %bb.1:
	s_load_dwordx2 s[6:7], s[4:5], 0x10
	v_lshlrev_b64 v[6:7], 2, v[2:3]
	s_waitcnt lgkmcnt(0)
	v_mov_b32_e32 v1, s7
	v_add_co_u32_e32 v6, vcc, s6, v6
	v_addc_co_u32_e32 v7, vcc, v1, v7, vcc
	global_load_dword v5, v[6:7], off
.LBB11_2:
	s_or_b64 exec, exec, s[2:3]
	v_lshlrev_b32_e32 v1, 2, v0
	s_waitcnt vmcnt(0)
	ds_write_b32 v1, v5
	s_and_saveexec_b64 s[2:3], s[0:1]
	s_cbranch_execz .LBB11_4
; %bb.3:
	s_load_dwordx2 s[6:7], s[4:5], 0x18
	v_lshlrev_b64 v[4:5], 2, v[2:3]
	s_waitcnt lgkmcnt(0)
	v_mov_b32_e32 v6, s7
	v_add_co_u32_e32 v4, vcc, s6, v4
	v_addc_co_u32_e32 v5, vcc, v6, v5, vcc
	global_load_dword v4, v[4:5], off
.LBB11_4:
	s_or_b64 exec, exec, s[2:3]
	s_load_dwordx2 s[2:3], s[4:5], 0x28
	v_mov_b32_e32 v6, 0
	v_mov_b32_e32 v7, 0
	s_waitcnt vmcnt(0)
	ds_write_b32 v1, v4 offset:64
	s_and_saveexec_b64 s[6:7], s[0:1]
	s_cbranch_execz .LBB11_6
; %bb.5:
	s_load_dwordx2 s[4:5], s[4:5], 0x20
	v_lshlrev_b64 v[4:5], 2, v[2:3]
	s_waitcnt lgkmcnt(0)
	v_mov_b32_e32 v7, s5
	v_add_co_u32_e32 v4, vcc, s4, v4
	v_addc_co_u32_e32 v5, vcc, v7, v5, vcc
	global_load_dword v7, v[4:5], off
.LBB11_6:
	s_or_b64 exec, exec, s[6:7]
	v_or_b32_e32 v4, 64, v1
	v_or_b32_e32 v5, 0x80, v1
	s_waitcnt vmcnt(0)
	ds_write_b32 v1, v7 offset:128
	s_and_saveexec_b64 s[4:5], s[0:1]
	s_cbranch_execz .LBB11_8
; %bb.7:
	v_lshlrev_b64 v[6:7], 2, v[2:3]
	s_waitcnt lgkmcnt(0)
	v_mov_b32_e32 v8, s3
	v_add_co_u32_e32 v6, vcc, s2, v6
	v_addc_co_u32_e32 v7, vcc, v8, v7, vcc
	global_load_dword v6, v[6:7], off
.LBB11_8:
	s_or_b64 exec, exec, s[4:5]
	s_waitcnt vmcnt(0)
	ds_write_b32 v1, v6 offset:256
	v_max_u32_e32 v6, 1, v0
	v_lshlrev_b32_e32 v9, 2, v6
	v_add_u32_e32 v10, -4, v9
	s_waitcnt lgkmcnt(0)
	; wave barrier
	s_waitcnt lgkmcnt(0)
	ds_read2_b32 v[6:7], v9 offset0:15 offset1:31
	ds_read_b32 v11, v1
	ds_read_b32 v12, v1 offset:256
	ds_read_b32 v13, v9 offset:252
	ds_read_b32 v14, v5
	ds_read_b32 v15, v4
	;; [unrolled: 1-line block ×3, first 2 shown]
	s_waitcnt lgkmcnt(5)
	v_div_scale_f32 v10, s[4:5], v6, v6, v11
	v_rcp_f32_e32 v17, v10
	s_add_i32 s6, s8, -1
	v_add_u32_e32 v8, 1, v0
	v_mov_b32_e32 v18, s6
	v_cmp_gt_i32_e32 vcc, s8, v8
	v_cndmask_b32_e32 v8, v18, v8, vcc
	v_fma_f32 v9, -v10, v17, 1.0
	v_lshlrev_b32_e32 v21, 2, v8
	v_fmac_f32_e32 v17, v9, v17
	ds_read2_b32 v[8:9], v21 offset1:16
	v_div_scale_f32 v19, vcc, v11, v6, v11
	v_mul_f32_e32 v20, v19, v17
	v_fma_f32 v22, -v10, v20, v19
	v_fmac_f32_e32 v20, v22, v17
	v_fma_f32 v10, -v10, v20, v19
	s_waitcnt lgkmcnt(0)
	v_div_scale_f32 v19, s[4:5], v9, v9, v14
	v_rcp_f32_e32 v22, v19
	v_div_fmas_f32 v10, v10, v17, v20
	v_div_fixup_f32 v6, v10, v6, v11
	v_fma_f32 v7, -v6, v7, v15
	v_fma_f32 v10, -v19, v22, 1.0
	v_fmac_f32_e32 v22, v10, v22
	v_div_scale_f32 v10, vcc, v14, v9, v14
	v_mul_f32_e32 v11, v10, v22
	v_fma_f32 v17, -v19, v11, v10
	v_fmac_f32_e32 v11, v17, v22
	v_fma_f32 v10, -v19, v11, v10
	v_div_fmas_f32 v17, v10, v22, v11
	ds_read2_b32 v[10:11], v21 offset0:32 offset1:64
	v_div_fixup_f32 v9, v17, v9, v14
	v_fma_f32 v7, -v9, v8, v7
	v_fma_f32 v8, -v6, v13, v12
	v_mul_f32_e64 v6, v6, -v16
	s_waitcnt lgkmcnt(0)
	v_fma_f32 v8, -v9, v11, v8
	v_mul_f32_e64 v9, v9, -v10
	s_waitcnt lgkmcnt(0)
	; wave barrier
	ds_write_b32 v4, v7
	ds_write_b32 v1, v8 offset:256
	ds_write_b32 v1, v6
	ds_write_b32 v5, v9
	v_max_u32_e32 v6, 2, v0
	v_lshlrev_b32_e32 v8, 2, v6
	s_waitcnt lgkmcnt(0)
	; wave barrier
	s_waitcnt lgkmcnt(0)
	v_add_u32_e32 v9, -8, v8
	ds_read2_b32 v[6:7], v8 offset0:14 offset1:30
	ds_read_b32 v10, v1
	ds_read_b32 v12, v1 offset:256
	ds_read_b32 v13, v8 offset:248
	ds_read_b32 v14, v5
	ds_read_b32 v15, v4
	;; [unrolled: 1-line block ×3, first 2 shown]
	s_waitcnt lgkmcnt(5)
	v_div_scale_f32 v11, s[4:5], v6, v6, v10
	v_rcp_f32_e32 v17, v11
	v_add_u32_e32 v8, 2, v0
	v_cmp_gt_i32_e32 vcc, s8, v8
	v_cndmask_b32_e32 v8, v18, v8, vcc
	v_fma_f32 v9, -v11, v17, 1.0
	v_lshlrev_b32_e32 v21, 2, v8
	v_fmac_f32_e32 v17, v9, v17
	ds_read2_b32 v[8:9], v21 offset1:16
	v_div_scale_f32 v19, vcc, v10, v6, v10
	v_mul_f32_e32 v20, v19, v17
	v_fma_f32 v22, -v11, v20, v19
	v_fmac_f32_e32 v20, v22, v17
	v_fma_f32 v11, -v11, v20, v19
	s_waitcnt lgkmcnt(0)
	v_div_scale_f32 v19, s[4:5], v9, v9, v14
	v_rcp_f32_e32 v22, v19
	v_div_fmas_f32 v11, v11, v17, v20
	v_div_fixup_f32 v6, v11, v6, v10
	v_fma_f32 v7, -v6, v7, v15
	v_fma_f32 v10, -v19, v22, 1.0
	v_fmac_f32_e32 v22, v10, v22
	v_div_scale_f32 v10, vcc, v14, v9, v14
	v_mul_f32_e32 v11, v10, v22
	v_fma_f32 v17, -v19, v11, v10
	v_fmac_f32_e32 v11, v17, v22
	v_fma_f32 v10, -v19, v11, v10
	v_div_fmas_f32 v17, v10, v22, v11
	ds_read2_b32 v[10:11], v21 offset0:32 offset1:64
	v_div_fixup_f32 v9, v17, v9, v14
	v_fma_f32 v7, -v9, v8, v7
	v_fma_f32 v8, -v6, v13, v12
	v_mul_f32_e64 v6, v6, -v16
	s_waitcnt lgkmcnt(0)
	v_fma_f32 v8, -v9, v11, v8
	v_mul_f32_e64 v9, v9, -v10
	s_waitcnt lgkmcnt(0)
	; wave barrier
	ds_write_b32 v4, v7
	ds_write_b32 v1, v8 offset:256
	ds_write_b32 v1, v6
	ds_write_b32 v5, v9
	v_max_u32_e32 v6, 4, v0
	v_lshlrev_b32_e32 v8, 2, v6
	s_waitcnt lgkmcnt(0)
	; wave barrier
	s_waitcnt lgkmcnt(0)
	v_add_u32_e32 v9, -16, v8
	ds_read2_b32 v[6:7], v8 offset0:12 offset1:28
	ds_read_b32 v10, v1
	ds_read_b32 v12, v1 offset:256
	ds_read_b32 v13, v8 offset:240
	ds_read_b32 v14, v5
	ds_read_b32 v15, v4
	;; [unrolled: 1-line block ×3, first 2 shown]
	s_waitcnt lgkmcnt(5)
	v_div_scale_f32 v11, s[4:5], v6, v6, v10
	v_rcp_f32_e32 v17, v11
	v_add_u32_e32 v8, 4, v0
	v_cmp_gt_i32_e32 vcc, s8, v8
	v_cndmask_b32_e32 v8, v18, v8, vcc
	v_fma_f32 v9, -v11, v17, 1.0
	v_lshlrev_b32_e32 v20, 2, v8
	v_fmac_f32_e32 v17, v9, v17
	ds_read2_b32 v[8:9], v20 offset1:16
	v_div_scale_f32 v18, vcc, v10, v6, v10
	v_mul_f32_e32 v19, v18, v17
	v_fma_f32 v21, -v11, v19, v18
	v_fmac_f32_e32 v19, v21, v17
	v_fma_f32 v11, -v11, v19, v18
	s_waitcnt lgkmcnt(0)
	v_div_scale_f32 v18, s[4:5], v9, v9, v14
	v_rcp_f32_e32 v21, v18
	v_div_fmas_f32 v11, v11, v17, v19
	v_div_fixup_f32 v6, v11, v6, v10
	v_fma_f32 v7, -v6, v7, v15
	v_fma_f32 v10, -v18, v21, 1.0
	v_fmac_f32_e32 v21, v10, v21
	v_div_scale_f32 v10, vcc, v14, v9, v14
	v_mul_f32_e32 v11, v10, v21
	v_fma_f32 v17, -v18, v11, v10
	v_fmac_f32_e32 v11, v17, v21
	v_fma_f32 v10, -v18, v11, v10
	v_div_fmas_f32 v17, v10, v21, v11
	ds_read2_b32 v[10:11], v20 offset0:32 offset1:64
	v_div_fixup_f32 v9, v17, v9, v14
	v_fma_f32 v7, -v9, v8, v7
	v_fma_f32 v8, -v6, v13, v12
	v_cmp_gt_u32_e32 vcc, 8, v0
	s_waitcnt lgkmcnt(0)
	v_fma_f32 v8, -v9, v11, v8
	v_mul_f32_e64 v6, v6, -v16
	v_mul_f32_e64 v9, v9, -v10
	s_waitcnt lgkmcnt(0)
	; wave barrier
	ds_write_b32 v4, v7
	ds_write_b32 v1, v8 offset:256
	ds_write_b32 v1, v6
	ds_write_b32 v5, v9
	s_waitcnt lgkmcnt(0)
	; wave barrier
	s_waitcnt lgkmcnt(0)
	s_and_saveexec_b64 s[4:5], vcc
	s_cbranch_execz .LBB11_14
; %bb.9:
	v_or_b32_e32 v6, 8, v0
	v_or_b32_e32 v7, 0x100, v1
	v_cmp_le_i32_e32 vcc, s8, v6
                                        ; implicit-def: $vgpr8
	s_and_saveexec_b64 s[6:7], vcc
	s_xor_b64 s[6:7], exec, s[6:7]
	s_cbranch_execz .LBB11_11
; %bb.10:
	ds_read_b32 v5, v7
	ds_read_b32 v4, v4
	s_waitcnt lgkmcnt(0)
	v_div_scale_f32 v6, s[8:9], v4, v4, v5
	v_rcp_f32_e32 v7, v6
	v_div_scale_f32 v8, vcc, v5, v4, v5
	v_fma_f32 v9, -v6, v7, 1.0
	v_fmac_f32_e32 v7, v9, v7
	v_mul_f32_e32 v9, v8, v7
	v_fma_f32 v10, -v6, v9, v8
	v_fmac_f32_e32 v9, v10, v7
	v_fma_f32 v6, -v6, v9, v8
	v_div_fmas_f32 v6, v6, v7, v9
	v_div_fixup_f32 v8, v6, v4, v5
                                        ; implicit-def: $vgpr4
                                        ; implicit-def: $vgpr5
                                        ; implicit-def: $vgpr7
                                        ; implicit-def: $vgpr6
.LBB11_11:
	s_andn2_saveexec_b64 s[6:7], s[6:7]
	s_cbranch_execz .LBB11_13
; %bb.12:
	ds_read_b32 v0, v5
	ds_read_b32 v10, v1 offset:32
	ds_read2_b32 v[4:5], v4 offset1:8
	s_waitcnt lgkmcnt(1)
	v_mul_f32_e32 v8, v0, v10
	s_waitcnt lgkmcnt(0)
	v_fma_f32 v11, v5, v4, -v8
	v_div_scale_f32 v12, s[8:9], v11, v11, 1.0
	v_rcp_f32_e32 v13, v12
	ds_read2_b32 v[8:9], v7 offset1:8
	v_div_scale_f32 v7, vcc, 1.0, v11, 1.0
	v_fma_f32 v14, -v12, v13, 1.0
	v_fmac_f32_e32 v13, v14, v13
	v_mul_f32_e32 v14, v7, v13
	v_fma_f32 v15, -v12, v14, v7
	v_fmac_f32_e32 v14, v15, v13
	v_fma_f32 v7, -v12, v14, v7
	v_div_fmas_f32 v7, v7, v13, v14
	s_waitcnt lgkmcnt(0)
	v_mul_f32_e32 v0, v0, v9
	v_div_fixup_f32 v7, v7, v11, 1.0
	v_fma_f32 v0, v5, v8, -v0
	v_mul_f32_e32 v0, v7, v0
	ds_write_b32 v1, v0 offset:192
	v_mul_f32_e32 v0, v10, v8
	v_fma_f32 v0, v4, v9, -v0
	v_mul_f32_e32 v8, v7, v0
	v_mov_b32_e32 v0, v6
.LBB11_13:
	s_or_b64 exec, exec, s[6:7]
	v_lshlrev_b32_e32 v0, 2, v0
	ds_write_b32 v0, v8 offset:192
.LBB11_14:
	s_or_b64 exec, exec, s[4:5]
	s_waitcnt lgkmcnt(0)
	; wave barrier
	s_waitcnt lgkmcnt(0)
	s_and_saveexec_b64 s[4:5], s[0:1]
	s_cbranch_execz .LBB11_16
; %bb.15:
	ds_read_b32 v5, v1 offset:192
	v_lshlrev_b64 v[2:3], 2, v[2:3]
	v_mov_b32_e32 v4, s3
	v_add_co_u32_e32 v0, vcc, s2, v2
	v_addc_co_u32_e32 v1, vcc, v4, v3, vcc
	s_waitcnt lgkmcnt(0)
	global_store_dword v[0:1], v5, off
.LBB11_16:
	s_endpgm
	.section	.rodata,"a",@progbits
	.p2align	6, 0x0
	.amdhsa_kernel _ZN9rocsparseL44gtsv_nopivot_strided_batch_pcr_shared_kernelILj16EfEEviiiPKT0_S3_S3_PS1_
		.amdhsa_group_segment_fixed_size 320
		.amdhsa_private_segment_fixed_size 0
		.amdhsa_kernarg_size 48
		.amdhsa_user_sgpr_count 6
		.amdhsa_user_sgpr_private_segment_buffer 1
		.amdhsa_user_sgpr_dispatch_ptr 0
		.amdhsa_user_sgpr_queue_ptr 0
		.amdhsa_user_sgpr_kernarg_segment_ptr 1
		.amdhsa_user_sgpr_dispatch_id 0
		.amdhsa_user_sgpr_flat_scratch_init 0
		.amdhsa_user_sgpr_kernarg_preload_length 0
		.amdhsa_user_sgpr_kernarg_preload_offset 0
		.amdhsa_user_sgpr_private_segment_size 0
		.amdhsa_uses_dynamic_stack 0
		.amdhsa_system_sgpr_private_segment_wavefront_offset 0
		.amdhsa_system_sgpr_workgroup_id_x 1
		.amdhsa_system_sgpr_workgroup_id_y 0
		.amdhsa_system_sgpr_workgroup_id_z 0
		.amdhsa_system_sgpr_workgroup_info 0
		.amdhsa_system_vgpr_workitem_id 0
		.amdhsa_next_free_vgpr 23
		.amdhsa_next_free_sgpr 10
		.amdhsa_accum_offset 24
		.amdhsa_reserve_vcc 1
		.amdhsa_reserve_flat_scratch 0
		.amdhsa_float_round_mode_32 0
		.amdhsa_float_round_mode_16_64 0
		.amdhsa_float_denorm_mode_32 3
		.amdhsa_float_denorm_mode_16_64 3
		.amdhsa_dx10_clamp 1
		.amdhsa_ieee_mode 1
		.amdhsa_fp16_overflow 0
		.amdhsa_tg_split 0
		.amdhsa_exception_fp_ieee_invalid_op 0
		.amdhsa_exception_fp_denorm_src 0
		.amdhsa_exception_fp_ieee_div_zero 0
		.amdhsa_exception_fp_ieee_overflow 0
		.amdhsa_exception_fp_ieee_underflow 0
		.amdhsa_exception_fp_ieee_inexact 0
		.amdhsa_exception_int_div_zero 0
	.end_amdhsa_kernel
	.section	.text._ZN9rocsparseL44gtsv_nopivot_strided_batch_pcr_shared_kernelILj16EfEEviiiPKT0_S3_S3_PS1_,"axG",@progbits,_ZN9rocsparseL44gtsv_nopivot_strided_batch_pcr_shared_kernelILj16EfEEviiiPKT0_S3_S3_PS1_,comdat
.Lfunc_end11:
	.size	_ZN9rocsparseL44gtsv_nopivot_strided_batch_pcr_shared_kernelILj16EfEEviiiPKT0_S3_S3_PS1_, .Lfunc_end11-_ZN9rocsparseL44gtsv_nopivot_strided_batch_pcr_shared_kernelILj16EfEEviiiPKT0_S3_S3_PS1_
                                        ; -- End function
	.section	.AMDGPU.csdata,"",@progbits
; Kernel info:
; codeLenInByte = 1780
; NumSgprs: 14
; NumVgprs: 23
; NumAgprs: 0
; TotalNumVgprs: 23
; ScratchSize: 0
; MemoryBound: 0
; FloatMode: 240
; IeeeMode: 1
; LDSByteSize: 320 bytes/workgroup (compile time only)
; SGPRBlocks: 1
; VGPRBlocks: 2
; NumSGPRsForWavesPerEU: 14
; NumVGPRsForWavesPerEU: 23
; AccumOffset: 24
; Occupancy: 8
; WaveLimiterHint : 0
; COMPUTE_PGM_RSRC2:SCRATCH_EN: 0
; COMPUTE_PGM_RSRC2:USER_SGPR: 6
; COMPUTE_PGM_RSRC2:TRAP_HANDLER: 0
; COMPUTE_PGM_RSRC2:TGID_X_EN: 1
; COMPUTE_PGM_RSRC2:TGID_Y_EN: 0
; COMPUTE_PGM_RSRC2:TGID_Z_EN: 0
; COMPUTE_PGM_RSRC2:TIDIG_COMP_CNT: 0
; COMPUTE_PGM_RSRC3_GFX90A:ACCUM_OFFSET: 5
; COMPUTE_PGM_RSRC3_GFX90A:TG_SPLIT: 0
	.section	.text._ZN9rocsparseL44gtsv_nopivot_strided_batch_pcr_shared_kernelILj32EfEEviiiPKT0_S3_S3_PS1_,"axG",@progbits,_ZN9rocsparseL44gtsv_nopivot_strided_batch_pcr_shared_kernelILj32EfEEviiiPKT0_S3_S3_PS1_,comdat
	.globl	_ZN9rocsparseL44gtsv_nopivot_strided_batch_pcr_shared_kernelILj32EfEEviiiPKT0_S3_S3_PS1_ ; -- Begin function _ZN9rocsparseL44gtsv_nopivot_strided_batch_pcr_shared_kernelILj32EfEEviiiPKT0_S3_S3_PS1_
	.p2align	8
	.type	_ZN9rocsparseL44gtsv_nopivot_strided_batch_pcr_shared_kernelILj32EfEEviiiPKT0_S3_S3_PS1_,@function
_ZN9rocsparseL44gtsv_nopivot_strided_batch_pcr_shared_kernelILj32EfEEviiiPKT0_S3_S3_PS1_: ; @_ZN9rocsparseL44gtsv_nopivot_strided_batch_pcr_shared_kernelILj32EfEEviiiPKT0_S3_S3_PS1_
; %bb.0:
	s_load_dword s0, s[4:5], 0x8
	s_load_dword s8, s[4:5], 0x0
	v_mov_b32_e32 v4, 0
	v_mov_b32_e32 v5, 0
	s_waitcnt lgkmcnt(0)
	s_mul_i32 s6, s6, s0
	v_add_u32_e32 v2, s6, v0
	v_cmp_gt_i32_e64 s[0:1], s8, v0
	v_ashrrev_i32_e32 v3, 31, v2
	s_and_saveexec_b64 s[2:3], s[0:1]
	s_cbranch_execz .LBB12_2
; %bb.1:
	s_load_dwordx2 s[6:7], s[4:5], 0x10
	v_lshlrev_b64 v[6:7], 2, v[2:3]
	s_waitcnt lgkmcnt(0)
	v_mov_b32_e32 v1, s7
	v_add_co_u32_e32 v6, vcc, s6, v6
	v_addc_co_u32_e32 v7, vcc, v1, v7, vcc
	global_load_dword v5, v[6:7], off
.LBB12_2:
	s_or_b64 exec, exec, s[2:3]
	v_lshlrev_b32_e32 v1, 2, v0
	s_waitcnt vmcnt(0)
	ds_write_b32 v1, v5
	s_and_saveexec_b64 s[2:3], s[0:1]
	s_cbranch_execz .LBB12_4
; %bb.3:
	s_load_dwordx2 s[6:7], s[4:5], 0x18
	v_lshlrev_b64 v[4:5], 2, v[2:3]
	s_waitcnt lgkmcnt(0)
	v_mov_b32_e32 v6, s7
	v_add_co_u32_e32 v4, vcc, s6, v4
	v_addc_co_u32_e32 v5, vcc, v6, v5, vcc
	global_load_dword v4, v[4:5], off
.LBB12_4:
	s_or_b64 exec, exec, s[2:3]
	s_load_dwordx2 s[2:3], s[4:5], 0x28
	v_mov_b32_e32 v6, 0
	v_mov_b32_e32 v7, 0
	s_waitcnt vmcnt(0)
	ds_write_b32 v1, v4 offset:128
	s_and_saveexec_b64 s[6:7], s[0:1]
	s_cbranch_execz .LBB12_6
; %bb.5:
	s_load_dwordx2 s[4:5], s[4:5], 0x20
	v_lshlrev_b64 v[4:5], 2, v[2:3]
	s_waitcnt lgkmcnt(0)
	v_mov_b32_e32 v7, s5
	v_add_co_u32_e32 v4, vcc, s4, v4
	v_addc_co_u32_e32 v5, vcc, v7, v5, vcc
	global_load_dword v7, v[4:5], off
.LBB12_6:
	s_or_b64 exec, exec, s[6:7]
	v_or_b32_e32 v4, 0x80, v1
	v_or_b32_e32 v5, 0x100, v1
	s_waitcnt vmcnt(0)
	ds_write_b32 v1, v7 offset:256
	s_and_saveexec_b64 s[4:5], s[0:1]
	s_cbranch_execz .LBB12_8
; %bb.7:
	v_lshlrev_b64 v[6:7], 2, v[2:3]
	s_waitcnt lgkmcnt(0)
	v_mov_b32_e32 v8, s3
	v_add_co_u32_e32 v6, vcc, s2, v6
	v_addc_co_u32_e32 v7, vcc, v8, v7, vcc
	global_load_dword v6, v[6:7], off
.LBB12_8:
	s_or_b64 exec, exec, s[4:5]
	s_waitcnt vmcnt(0)
	ds_write_b32 v1, v6 offset:512
	v_max_u32_e32 v6, 1, v0
	v_lshlrev_b32_e32 v9, 2, v6
	s_waitcnt lgkmcnt(0)
	; wave barrier
	s_waitcnt lgkmcnt(0)
	v_add_u32_e32 v10, -4, v9
	ds_read2_b32 v[6:7], v9 offset0:31 offset1:63
	ds_read_b32 v11, v1
	ds_read_b32 v12, v1 offset:512
	ds_read_b32 v13, v9 offset:508
	ds_read_b32 v14, v10
	s_add_i32 s6, s8, -1
	s_waitcnt lgkmcnt(3)
	v_div_scale_f32 v10, s[4:5], v6, v6, v11
	v_rcp_f32_e32 v15, v10
	v_add_u32_e32 v8, 1, v0
	v_mov_b32_e32 v16, s6
	v_cmp_gt_i32_e32 vcc, s8, v8
	v_cndmask_b32_e32 v8, v16, v8, vcc
	v_fma_f32 v9, -v10, v15, 1.0
	v_lshlrev_b32_e32 v20, 2, v8
	v_fmac_f32_e32 v15, v9, v15
	ds_read2_b32 v[8:9], v20 offset1:32
	ds_read_b32 v21, v5
	v_div_scale_f32 v17, vcc, v11, v6, v11
	v_mul_f32_e32 v18, v17, v15
	v_fma_f32 v19, -v10, v18, v17
	v_fmac_f32_e32 v18, v19, v15
	s_waitcnt lgkmcnt(0)
	v_div_scale_f32 v19, s[4:5], v9, v9, v21
	v_rcp_f32_e32 v22, v19
	v_fma_f32 v10, -v10, v18, v17
	v_div_fmas_f32 v10, v10, v15, v18
	v_div_fixup_f32 v6, v10, v6, v11
	v_fma_f32 v10, -v19, v22, 1.0
	v_fmac_f32_e32 v22, v10, v22
	v_div_scale_f32 v10, vcc, v21, v9, v21
	v_mul_f32_e32 v11, v10, v22
	v_fma_f32 v15, -v19, v11, v10
	ds_read_b32 v17, v4
	v_fmac_f32_e32 v11, v15, v22
	v_fma_f32 v10, -v19, v11, v10
	v_div_fmas_f32 v15, v10, v22, v11
	ds_read2st64_b32 v[10:11], v20 offset0:1 offset1:2
	v_div_fixup_f32 v9, v15, v9, v21
	s_waitcnt lgkmcnt(1)
	v_fma_f32 v7, -v6, v7, v17
	v_fma_f32 v7, -v9, v8, v7
	;; [unrolled: 1-line block ×3, first 2 shown]
	v_mul_f32_e64 v6, v6, -v14
	s_waitcnt lgkmcnt(0)
	v_fma_f32 v8, -v9, v11, v8
	v_mul_f32_e64 v9, v9, -v10
	s_waitcnt lgkmcnt(0)
	; wave barrier
	ds_write_b32 v4, v7
	ds_write_b32 v1, v8 offset:512
	ds_write_b32 v1, v6
	ds_write_b32 v5, v9
	v_max_u32_e32 v6, 2, v0
	v_lshlrev_b32_e32 v8, 2, v6
	s_waitcnt lgkmcnt(0)
	; wave barrier
	s_waitcnt lgkmcnt(0)
	v_add_u32_e32 v9, -8, v8
	ds_read2_b32 v[6:7], v8 offset0:30 offset1:62
	ds_read_b32 v10, v1
	ds_read_b32 v12, v1 offset:512
	ds_read_b32 v13, v8 offset:504
	ds_read_b32 v14, v9
	v_add_u32_e32 v8, 2, v0
	s_waitcnt lgkmcnt(3)
	v_div_scale_f32 v11, s[4:5], v6, v6, v10
	v_rcp_f32_e32 v15, v11
	v_cmp_gt_i32_e32 vcc, s8, v8
	v_cndmask_b32_e32 v8, v16, v8, vcc
	v_lshlrev_b32_e32 v20, 2, v8
	v_fma_f32 v9, -v11, v15, 1.0
	v_fmac_f32_e32 v15, v9, v15
	ds_read2_b32 v[8:9], v20 offset1:32
	ds_read_b32 v21, v5
	v_div_scale_f32 v17, vcc, v10, v6, v10
	v_mul_f32_e32 v18, v17, v15
	v_fma_f32 v19, -v11, v18, v17
	v_fmac_f32_e32 v18, v19, v15
	s_waitcnt lgkmcnt(0)
	v_div_scale_f32 v19, s[4:5], v9, v9, v21
	v_rcp_f32_e32 v22, v19
	v_fma_f32 v11, -v11, v18, v17
	v_div_fmas_f32 v11, v11, v15, v18
	v_div_fixup_f32 v6, v11, v6, v10
	v_fma_f32 v10, -v19, v22, 1.0
	v_fmac_f32_e32 v22, v10, v22
	v_div_scale_f32 v10, vcc, v21, v9, v21
	v_mul_f32_e32 v11, v10, v22
	v_fma_f32 v15, -v19, v11, v10
	ds_read_b32 v17, v4
	v_fmac_f32_e32 v11, v15, v22
	v_fma_f32 v10, -v19, v11, v10
	v_div_fmas_f32 v15, v10, v22, v11
	ds_read2st64_b32 v[10:11], v20 offset0:1 offset1:2
	v_div_fixup_f32 v9, v15, v9, v21
	s_waitcnt lgkmcnt(1)
	v_fma_f32 v7, -v6, v7, v17
	v_fma_f32 v7, -v9, v8, v7
	;; [unrolled: 1-line block ×3, first 2 shown]
	v_mul_f32_e64 v6, v6, -v14
	s_waitcnt lgkmcnt(0)
	v_fma_f32 v8, -v9, v11, v8
	v_mul_f32_e64 v9, v9, -v10
	s_waitcnt lgkmcnt(0)
	; wave barrier
	ds_write_b32 v4, v7
	ds_write_b32 v1, v8 offset:512
	ds_write_b32 v1, v6
	ds_write_b32 v5, v9
	v_max_u32_e32 v6, 4, v0
	v_lshlrev_b32_e32 v8, 2, v6
	s_waitcnt lgkmcnt(0)
	; wave barrier
	s_waitcnt lgkmcnt(0)
	v_add_u32_e32 v9, -16, v8
	ds_read2_b32 v[6:7], v8 offset0:28 offset1:60
	ds_read_b32 v10, v1
	ds_read_b32 v12, v1 offset:512
	ds_read_b32 v13, v8 offset:496
	ds_read_b32 v14, v9
	v_add_u32_e32 v8, 4, v0
	s_waitcnt lgkmcnt(3)
	v_div_scale_f32 v11, s[4:5], v6, v6, v10
	v_rcp_f32_e32 v15, v11
	v_cmp_gt_i32_e32 vcc, s8, v8
	v_cndmask_b32_e32 v8, v16, v8, vcc
	v_lshlrev_b32_e32 v20, 2, v8
	v_fma_f32 v9, -v11, v15, 1.0
	v_fmac_f32_e32 v15, v9, v15
	ds_read2_b32 v[8:9], v20 offset1:32
	ds_read_b32 v21, v5
	v_div_scale_f32 v17, vcc, v10, v6, v10
	v_mul_f32_e32 v18, v17, v15
	v_fma_f32 v19, -v11, v18, v17
	v_fmac_f32_e32 v18, v19, v15
	s_waitcnt lgkmcnt(0)
	v_div_scale_f32 v19, s[4:5], v9, v9, v21
	v_rcp_f32_e32 v22, v19
	v_fma_f32 v11, -v11, v18, v17
	v_div_fmas_f32 v11, v11, v15, v18
	v_div_fixup_f32 v6, v11, v6, v10
	v_fma_f32 v10, -v19, v22, 1.0
	v_fmac_f32_e32 v22, v10, v22
	v_div_scale_f32 v10, vcc, v21, v9, v21
	v_mul_f32_e32 v11, v10, v22
	v_fma_f32 v15, -v19, v11, v10
	ds_read_b32 v17, v4
	v_fmac_f32_e32 v11, v15, v22
	v_fma_f32 v10, -v19, v11, v10
	v_div_fmas_f32 v15, v10, v22, v11
	ds_read2st64_b32 v[10:11], v20 offset0:1 offset1:2
	v_div_fixup_f32 v9, v15, v9, v21
	s_waitcnt lgkmcnt(1)
	v_fma_f32 v7, -v6, v7, v17
	v_fma_f32 v7, -v9, v8, v7
	;; [unrolled: 1-line block ×3, first 2 shown]
	v_mul_f32_e64 v6, v6, -v14
	s_waitcnt lgkmcnt(0)
	v_fma_f32 v8, -v9, v11, v8
	v_mul_f32_e64 v9, v9, -v10
	s_waitcnt lgkmcnt(0)
	; wave barrier
	ds_write_b32 v4, v7
	ds_write_b32 v1, v8 offset:512
	ds_write_b32 v1, v6
	ds_write_b32 v5, v9
	v_max_u32_e32 v6, 8, v0
	v_lshlrev_b32_e32 v8, 2, v6
	s_waitcnt lgkmcnt(0)
	; wave barrier
	s_waitcnt lgkmcnt(0)
	v_subrev_u32_e32 v9, 32, v8
	ds_read2_b32 v[6:7], v8 offset0:24 offset1:56
	ds_read_b32 v10, v1
	ds_read_b32 v12, v1 offset:512
	ds_read_b32 v13, v8 offset:480
	ds_read_b32 v14, v9
	v_add_u32_e32 v8, 8, v0
	s_waitcnt lgkmcnt(3)
	v_div_scale_f32 v11, s[4:5], v6, v6, v10
	v_rcp_f32_e32 v15, v11
	v_cmp_gt_i32_e32 vcc, s8, v8
	v_cndmask_b32_e32 v8, v16, v8, vcc
	v_lshlrev_b32_e32 v19, 2, v8
	v_fma_f32 v9, -v11, v15, 1.0
	v_fmac_f32_e32 v15, v9, v15
	ds_read2_b32 v[8:9], v19 offset1:32
	ds_read_b32 v20, v5
	v_div_scale_f32 v16, vcc, v10, v6, v10
	v_mul_f32_e32 v17, v16, v15
	v_fma_f32 v18, -v11, v17, v16
	v_fmac_f32_e32 v17, v18, v15
	s_waitcnt lgkmcnt(0)
	v_div_scale_f32 v18, s[4:5], v9, v9, v20
	v_rcp_f32_e32 v21, v18
	v_fma_f32 v11, -v11, v17, v16
	v_div_fmas_f32 v11, v11, v15, v17
	v_div_fixup_f32 v6, v11, v6, v10
	v_fma_f32 v10, -v18, v21, 1.0
	v_fmac_f32_e32 v21, v10, v21
	v_div_scale_f32 v10, vcc, v20, v9, v20
	v_mul_f32_e32 v11, v10, v21
	v_fma_f32 v15, -v18, v11, v10
	ds_read_b32 v16, v4
	v_fmac_f32_e32 v11, v15, v21
	v_fma_f32 v10, -v18, v11, v10
	v_div_fmas_f32 v15, v10, v21, v11
	ds_read2st64_b32 v[10:11], v19 offset0:1 offset1:2
	v_div_fixup_f32 v9, v15, v9, v20
	s_waitcnt lgkmcnt(1)
	v_fma_f32 v7, -v6, v7, v16
	v_fma_f32 v7, -v9, v8, v7
	;; [unrolled: 1-line block ×3, first 2 shown]
	v_cmp_gt_u32_e32 vcc, 16, v0
	s_waitcnt lgkmcnt(0)
	v_fma_f32 v8, -v9, v11, v8
	v_mul_f32_e64 v6, v6, -v14
	v_mul_f32_e64 v9, v9, -v10
	s_waitcnt lgkmcnt(0)
	; wave barrier
	ds_write_b32 v4, v7
	ds_write_b32 v1, v8 offset:512
	ds_write_b32 v1, v6
	ds_write_b32 v5, v9
	s_waitcnt lgkmcnt(0)
	; wave barrier
	s_waitcnt lgkmcnt(0)
	s_and_saveexec_b64 s[4:5], vcc
	s_cbranch_execz .LBB12_14
; %bb.9:
	v_or_b32_e32 v6, 16, v0
	v_or_b32_e32 v7, 0x200, v1
	v_cmp_le_i32_e32 vcc, s8, v6
                                        ; implicit-def: $vgpr8
	s_and_saveexec_b64 s[6:7], vcc
	s_xor_b64 s[6:7], exec, s[6:7]
	s_cbranch_execz .LBB12_11
; %bb.10:
	ds_read_b32 v5, v7
	ds_read_b32 v4, v4
	s_waitcnt lgkmcnt(0)
	v_div_scale_f32 v6, s[8:9], v4, v4, v5
	v_rcp_f32_e32 v7, v6
	v_div_scale_f32 v8, vcc, v5, v4, v5
	v_fma_f32 v9, -v6, v7, 1.0
	v_fmac_f32_e32 v7, v9, v7
	v_mul_f32_e32 v9, v8, v7
	v_fma_f32 v10, -v6, v9, v8
	v_fmac_f32_e32 v9, v10, v7
	v_fma_f32 v6, -v6, v9, v8
	v_div_fmas_f32 v6, v6, v7, v9
	v_div_fixup_f32 v8, v6, v4, v5
                                        ; implicit-def: $vgpr4
                                        ; implicit-def: $vgpr5
                                        ; implicit-def: $vgpr7
                                        ; implicit-def: $vgpr6
.LBB12_11:
	s_andn2_saveexec_b64 s[6:7], s[6:7]
	s_cbranch_execz .LBB12_13
; %bb.12:
	ds_read_b32 v0, v5
	ds_read_b32 v10, v1 offset:64
	ds_read2_b32 v[4:5], v4 offset1:16
	s_waitcnt lgkmcnt(1)
	v_mul_f32_e32 v8, v0, v10
	s_waitcnt lgkmcnt(0)
	v_fma_f32 v11, v5, v4, -v8
	v_div_scale_f32 v12, s[8:9], v11, v11, 1.0
	v_rcp_f32_e32 v13, v12
	ds_read2_b32 v[8:9], v7 offset1:16
	v_div_scale_f32 v7, vcc, 1.0, v11, 1.0
	v_fma_f32 v14, -v12, v13, 1.0
	v_fmac_f32_e32 v13, v14, v13
	v_mul_f32_e32 v14, v7, v13
	v_fma_f32 v15, -v12, v14, v7
	v_fmac_f32_e32 v14, v15, v13
	v_fma_f32 v7, -v12, v14, v7
	v_div_fmas_f32 v7, v7, v13, v14
	s_waitcnt lgkmcnt(0)
	v_mul_f32_e32 v0, v0, v9
	v_div_fixup_f32 v7, v7, v11, 1.0
	v_fma_f32 v0, v5, v8, -v0
	v_mul_f32_e32 v0, v7, v0
	ds_write_b32 v1, v0 offset:384
	v_mul_f32_e32 v0, v10, v8
	v_fma_f32 v0, v4, v9, -v0
	v_mul_f32_e32 v8, v7, v0
	v_mov_b32_e32 v0, v6
.LBB12_13:
	s_or_b64 exec, exec, s[6:7]
	v_lshlrev_b32_e32 v0, 2, v0
	ds_write_b32 v0, v8 offset:384
.LBB12_14:
	s_or_b64 exec, exec, s[4:5]
	s_waitcnt lgkmcnt(0)
	; wave barrier
	s_waitcnt lgkmcnt(0)
	s_and_saveexec_b64 s[4:5], s[0:1]
	s_cbranch_execz .LBB12_16
; %bb.15:
	ds_read_b32 v5, v1 offset:384
	v_lshlrev_b64 v[2:3], 2, v[2:3]
	v_mov_b32_e32 v4, s3
	v_add_co_u32_e32 v0, vcc, s2, v2
	v_addc_co_u32_e32 v1, vcc, v4, v3, vcc
	s_waitcnt lgkmcnt(0)
	global_store_dword v[0:1], v5, off
.LBB12_16:
	s_endpgm
	.section	.rodata,"a",@progbits
	.p2align	6, 0x0
	.amdhsa_kernel _ZN9rocsparseL44gtsv_nopivot_strided_batch_pcr_shared_kernelILj32EfEEviiiPKT0_S3_S3_PS1_
		.amdhsa_group_segment_fixed_size 640
		.amdhsa_private_segment_fixed_size 0
		.amdhsa_kernarg_size 48
		.amdhsa_user_sgpr_count 6
		.amdhsa_user_sgpr_private_segment_buffer 1
		.amdhsa_user_sgpr_dispatch_ptr 0
		.amdhsa_user_sgpr_queue_ptr 0
		.amdhsa_user_sgpr_kernarg_segment_ptr 1
		.amdhsa_user_sgpr_dispatch_id 0
		.amdhsa_user_sgpr_flat_scratch_init 0
		.amdhsa_user_sgpr_kernarg_preload_length 0
		.amdhsa_user_sgpr_kernarg_preload_offset 0
		.amdhsa_user_sgpr_private_segment_size 0
		.amdhsa_uses_dynamic_stack 0
		.amdhsa_system_sgpr_private_segment_wavefront_offset 0
		.amdhsa_system_sgpr_workgroup_id_x 1
		.amdhsa_system_sgpr_workgroup_id_y 0
		.amdhsa_system_sgpr_workgroup_id_z 0
		.amdhsa_system_sgpr_workgroup_info 0
		.amdhsa_system_vgpr_workitem_id 0
		.amdhsa_next_free_vgpr 23
		.amdhsa_next_free_sgpr 10
		.amdhsa_accum_offset 24
		.amdhsa_reserve_vcc 1
		.amdhsa_reserve_flat_scratch 0
		.amdhsa_float_round_mode_32 0
		.amdhsa_float_round_mode_16_64 0
		.amdhsa_float_denorm_mode_32 3
		.amdhsa_float_denorm_mode_16_64 3
		.amdhsa_dx10_clamp 1
		.amdhsa_ieee_mode 1
		.amdhsa_fp16_overflow 0
		.amdhsa_tg_split 0
		.amdhsa_exception_fp_ieee_invalid_op 0
		.amdhsa_exception_fp_denorm_src 0
		.amdhsa_exception_fp_ieee_div_zero 0
		.amdhsa_exception_fp_ieee_overflow 0
		.amdhsa_exception_fp_ieee_underflow 0
		.amdhsa_exception_fp_ieee_inexact 0
		.amdhsa_exception_int_div_zero 0
	.end_amdhsa_kernel
	.section	.text._ZN9rocsparseL44gtsv_nopivot_strided_batch_pcr_shared_kernelILj32EfEEviiiPKT0_S3_S3_PS1_,"axG",@progbits,_ZN9rocsparseL44gtsv_nopivot_strided_batch_pcr_shared_kernelILj32EfEEviiiPKT0_S3_S3_PS1_,comdat
.Lfunc_end12:
	.size	_ZN9rocsparseL44gtsv_nopivot_strided_batch_pcr_shared_kernelILj32EfEEviiiPKT0_S3_S3_PS1_, .Lfunc_end12-_ZN9rocsparseL44gtsv_nopivot_strided_batch_pcr_shared_kernelILj32EfEEviiiPKT0_S3_S3_PS1_
                                        ; -- End function
	.section	.AMDGPU.csdata,"",@progbits
; Kernel info:
; codeLenInByte = 2148
; NumSgprs: 14
; NumVgprs: 23
; NumAgprs: 0
; TotalNumVgprs: 23
; ScratchSize: 0
; MemoryBound: 0
; FloatMode: 240
; IeeeMode: 1
; LDSByteSize: 640 bytes/workgroup (compile time only)
; SGPRBlocks: 1
; VGPRBlocks: 2
; NumSGPRsForWavesPerEU: 14
; NumVGPRsForWavesPerEU: 23
; AccumOffset: 24
; Occupancy: 8
; WaveLimiterHint : 0
; COMPUTE_PGM_RSRC2:SCRATCH_EN: 0
; COMPUTE_PGM_RSRC2:USER_SGPR: 6
; COMPUTE_PGM_RSRC2:TRAP_HANDLER: 0
; COMPUTE_PGM_RSRC2:TGID_X_EN: 1
; COMPUTE_PGM_RSRC2:TGID_Y_EN: 0
; COMPUTE_PGM_RSRC2:TGID_Z_EN: 0
; COMPUTE_PGM_RSRC2:TIDIG_COMP_CNT: 0
; COMPUTE_PGM_RSRC3_GFX90A:ACCUM_OFFSET: 5
; COMPUTE_PGM_RSRC3_GFX90A:TG_SPLIT: 0
	.section	.text._ZN9rocsparseL44gtsv_nopivot_strided_batch_pcr_shared_kernelILj64EfEEviiiPKT0_S3_S3_PS1_,"axG",@progbits,_ZN9rocsparseL44gtsv_nopivot_strided_batch_pcr_shared_kernelILj64EfEEviiiPKT0_S3_S3_PS1_,comdat
	.globl	_ZN9rocsparseL44gtsv_nopivot_strided_batch_pcr_shared_kernelILj64EfEEviiiPKT0_S3_S3_PS1_ ; -- Begin function _ZN9rocsparseL44gtsv_nopivot_strided_batch_pcr_shared_kernelILj64EfEEviiiPKT0_S3_S3_PS1_
	.p2align	8
	.type	_ZN9rocsparseL44gtsv_nopivot_strided_batch_pcr_shared_kernelILj64EfEEviiiPKT0_S3_S3_PS1_,@function
_ZN9rocsparseL44gtsv_nopivot_strided_batch_pcr_shared_kernelILj64EfEEviiiPKT0_S3_S3_PS1_: ; @_ZN9rocsparseL44gtsv_nopivot_strided_batch_pcr_shared_kernelILj64EfEEviiiPKT0_S3_S3_PS1_
; %bb.0:
	s_load_dword s0, s[4:5], 0x8
	s_load_dword s8, s[4:5], 0x0
	v_mov_b32_e32 v4, 0
	v_mov_b32_e32 v5, 0
	s_waitcnt lgkmcnt(0)
	s_mul_i32 s6, s6, s0
	v_add_u32_e32 v2, s6, v0
	v_cmp_gt_i32_e64 s[0:1], s8, v0
	v_ashrrev_i32_e32 v3, 31, v2
	s_and_saveexec_b64 s[2:3], s[0:1]
	s_cbranch_execz .LBB13_2
; %bb.1:
	s_load_dwordx2 s[6:7], s[4:5], 0x10
	v_lshlrev_b64 v[6:7], 2, v[2:3]
	s_waitcnt lgkmcnt(0)
	v_mov_b32_e32 v1, s7
	v_add_co_u32_e32 v6, vcc, s6, v6
	v_addc_co_u32_e32 v7, vcc, v1, v7, vcc
	global_load_dword v5, v[6:7], off
.LBB13_2:
	s_or_b64 exec, exec, s[2:3]
	v_lshlrev_b32_e32 v1, 2, v0
	s_waitcnt vmcnt(0)
	ds_write_b32 v1, v5
	s_and_saveexec_b64 s[2:3], s[0:1]
	s_cbranch_execz .LBB13_4
; %bb.3:
	s_load_dwordx2 s[6:7], s[4:5], 0x18
	v_lshlrev_b64 v[4:5], 2, v[2:3]
	s_waitcnt lgkmcnt(0)
	v_mov_b32_e32 v6, s7
	v_add_co_u32_e32 v4, vcc, s6, v4
	v_addc_co_u32_e32 v5, vcc, v6, v5, vcc
	global_load_dword v4, v[4:5], off
.LBB13_4:
	s_or_b64 exec, exec, s[2:3]
	s_load_dwordx2 s[2:3], s[4:5], 0x28
	v_mov_b32_e32 v6, 0
	v_mov_b32_e32 v7, 0
	s_waitcnt vmcnt(0)
	ds_write_b32 v1, v4 offset:256
	s_and_saveexec_b64 s[6:7], s[0:1]
	s_cbranch_execz .LBB13_6
; %bb.5:
	s_load_dwordx2 s[4:5], s[4:5], 0x20
	v_lshlrev_b64 v[4:5], 2, v[2:3]
	s_waitcnt lgkmcnt(0)
	v_mov_b32_e32 v7, s5
	v_add_co_u32_e32 v4, vcc, s4, v4
	v_addc_co_u32_e32 v5, vcc, v7, v5, vcc
	global_load_dword v7, v[4:5], off
.LBB13_6:
	s_or_b64 exec, exec, s[6:7]
	v_or_b32_e32 v4, 0x100, v1
	v_or_b32_e32 v5, 0x200, v1
	s_waitcnt vmcnt(0)
	ds_write_b32 v1, v7 offset:512
	s_and_saveexec_b64 s[4:5], s[0:1]
	s_cbranch_execz .LBB13_8
; %bb.7:
	v_lshlrev_b64 v[6:7], 2, v[2:3]
	s_waitcnt lgkmcnt(0)
	v_mov_b32_e32 v8, s3
	v_add_co_u32_e32 v6, vcc, s2, v6
	v_addc_co_u32_e32 v7, vcc, v8, v7, vcc
	global_load_dword v6, v[6:7], off
.LBB13_8:
	s_or_b64 exec, exec, s[4:5]
	s_waitcnt vmcnt(0)
	ds_write_b32 v1, v6 offset:1024
	v_max_u32_e32 v6, 1, v0
	v_lshlrev_b32_e32 v9, 2, v6
	s_waitcnt lgkmcnt(0)
	; wave barrier
	s_waitcnt lgkmcnt(0)
	v_add_u32_e32 v10, -4, v9
	ds_read2_b32 v[6:7], v9 offset0:63 offset1:127
	ds_read_b32 v11, v1
	ds_read_b32 v12, v1 offset:1024
	ds_read_b32 v13, v9 offset:1020
	ds_read_b32 v14, v10
	s_add_i32 s6, s8, -1
	s_waitcnt lgkmcnt(3)
	v_div_scale_f32 v10, s[4:5], v6, v6, v11
	v_rcp_f32_e32 v15, v10
	v_add_u32_e32 v8, 1, v0
	v_mov_b32_e32 v16, s6
	v_cmp_gt_i32_e32 vcc, s8, v8
	v_cndmask_b32_e32 v8, v16, v8, vcc
	v_fma_f32 v9, -v10, v15, 1.0
	v_lshlrev_b32_e32 v20, 2, v8
	v_fmac_f32_e32 v15, v9, v15
	ds_read2st64_b32 v[8:9], v20 offset1:1
	ds_read_b32 v21, v5
	v_div_scale_f32 v17, vcc, v11, v6, v11
	v_mul_f32_e32 v18, v17, v15
	v_fma_f32 v19, -v10, v18, v17
	v_fmac_f32_e32 v18, v19, v15
	s_waitcnt lgkmcnt(0)
	v_div_scale_f32 v19, s[4:5], v9, v9, v21
	v_rcp_f32_e32 v22, v19
	v_fma_f32 v10, -v10, v18, v17
	v_div_fmas_f32 v10, v10, v15, v18
	v_div_fixup_f32 v6, v10, v6, v11
	v_fma_f32 v10, -v19, v22, 1.0
	v_fmac_f32_e32 v22, v10, v22
	v_div_scale_f32 v10, vcc, v21, v9, v21
	v_mul_f32_e32 v11, v10, v22
	v_fma_f32 v15, -v19, v11, v10
	ds_read_b32 v17, v4
	v_fmac_f32_e32 v11, v15, v22
	v_fma_f32 v10, -v19, v11, v10
	v_div_fmas_f32 v15, v10, v22, v11
	ds_read2st64_b32 v[10:11], v20 offset0:2 offset1:4
	v_div_fixup_f32 v9, v15, v9, v21
	s_waitcnt lgkmcnt(1)
	v_fma_f32 v7, -v6, v7, v17
	v_fma_f32 v7, -v9, v8, v7
	;; [unrolled: 1-line block ×3, first 2 shown]
	v_mul_f32_e64 v6, v6, -v14
	s_waitcnt lgkmcnt(0)
	v_fma_f32 v8, -v9, v11, v8
	v_mul_f32_e64 v9, v9, -v10
	s_waitcnt lgkmcnt(0)
	; wave barrier
	ds_write_b32 v4, v7
	ds_write_b32 v1, v8 offset:1024
	ds_write_b32 v1, v6
	ds_write_b32 v5, v9
	v_max_u32_e32 v6, 2, v0
	v_lshlrev_b32_e32 v8, 2, v6
	s_waitcnt lgkmcnt(0)
	; wave barrier
	s_waitcnt lgkmcnt(0)
	v_add_u32_e32 v9, -8, v8
	ds_read2_b32 v[6:7], v8 offset0:62 offset1:126
	ds_read_b32 v10, v1
	ds_read_b32 v12, v1 offset:1024
	ds_read_b32 v13, v8 offset:1016
	ds_read_b32 v14, v9
	v_add_u32_e32 v8, 2, v0
	s_waitcnt lgkmcnt(3)
	v_div_scale_f32 v11, s[4:5], v6, v6, v10
	v_rcp_f32_e32 v15, v11
	v_cmp_gt_i32_e32 vcc, s8, v8
	v_cndmask_b32_e32 v8, v16, v8, vcc
	v_lshlrev_b32_e32 v20, 2, v8
	v_fma_f32 v9, -v11, v15, 1.0
	v_fmac_f32_e32 v15, v9, v15
	ds_read2st64_b32 v[8:9], v20 offset1:1
	ds_read_b32 v21, v5
	v_div_scale_f32 v17, vcc, v10, v6, v10
	v_mul_f32_e32 v18, v17, v15
	v_fma_f32 v19, -v11, v18, v17
	v_fmac_f32_e32 v18, v19, v15
	s_waitcnt lgkmcnt(0)
	v_div_scale_f32 v19, s[4:5], v9, v9, v21
	v_rcp_f32_e32 v22, v19
	v_fma_f32 v11, -v11, v18, v17
	v_div_fmas_f32 v11, v11, v15, v18
	v_div_fixup_f32 v6, v11, v6, v10
	v_fma_f32 v10, -v19, v22, 1.0
	v_fmac_f32_e32 v22, v10, v22
	v_div_scale_f32 v10, vcc, v21, v9, v21
	v_mul_f32_e32 v11, v10, v22
	v_fma_f32 v15, -v19, v11, v10
	ds_read_b32 v17, v4
	v_fmac_f32_e32 v11, v15, v22
	v_fma_f32 v10, -v19, v11, v10
	v_div_fmas_f32 v15, v10, v22, v11
	ds_read2st64_b32 v[10:11], v20 offset0:2 offset1:4
	v_div_fixup_f32 v9, v15, v9, v21
	s_waitcnt lgkmcnt(1)
	v_fma_f32 v7, -v6, v7, v17
	v_fma_f32 v7, -v9, v8, v7
	v_fma_f32 v8, -v6, v13, v12
	v_mul_f32_e64 v6, v6, -v14
	s_waitcnt lgkmcnt(0)
	v_fma_f32 v8, -v9, v11, v8
	v_mul_f32_e64 v9, v9, -v10
	s_waitcnt lgkmcnt(0)
	; wave barrier
	ds_write_b32 v4, v7
	ds_write_b32 v1, v8 offset:1024
	ds_write_b32 v1, v6
	ds_write_b32 v5, v9
	v_max_u32_e32 v6, 4, v0
	v_lshlrev_b32_e32 v8, 2, v6
	s_waitcnt lgkmcnt(0)
	; wave barrier
	s_waitcnt lgkmcnt(0)
	v_add_u32_e32 v9, -16, v8
	ds_read2_b32 v[6:7], v8 offset0:60 offset1:124
	ds_read_b32 v10, v1
	ds_read_b32 v12, v1 offset:1024
	ds_read_b32 v13, v8 offset:1008
	ds_read_b32 v14, v9
	v_add_u32_e32 v8, 4, v0
	s_waitcnt lgkmcnt(3)
	v_div_scale_f32 v11, s[4:5], v6, v6, v10
	v_rcp_f32_e32 v15, v11
	v_cmp_gt_i32_e32 vcc, s8, v8
	v_cndmask_b32_e32 v8, v16, v8, vcc
	v_lshlrev_b32_e32 v20, 2, v8
	v_fma_f32 v9, -v11, v15, 1.0
	v_fmac_f32_e32 v15, v9, v15
	ds_read2st64_b32 v[8:9], v20 offset1:1
	ds_read_b32 v21, v5
	v_div_scale_f32 v17, vcc, v10, v6, v10
	v_mul_f32_e32 v18, v17, v15
	v_fma_f32 v19, -v11, v18, v17
	v_fmac_f32_e32 v18, v19, v15
	s_waitcnt lgkmcnt(0)
	v_div_scale_f32 v19, s[4:5], v9, v9, v21
	v_rcp_f32_e32 v22, v19
	v_fma_f32 v11, -v11, v18, v17
	v_div_fmas_f32 v11, v11, v15, v18
	v_div_fixup_f32 v6, v11, v6, v10
	v_fma_f32 v10, -v19, v22, 1.0
	v_fmac_f32_e32 v22, v10, v22
	v_div_scale_f32 v10, vcc, v21, v9, v21
	v_mul_f32_e32 v11, v10, v22
	v_fma_f32 v15, -v19, v11, v10
	ds_read_b32 v17, v4
	v_fmac_f32_e32 v11, v15, v22
	v_fma_f32 v10, -v19, v11, v10
	v_div_fmas_f32 v15, v10, v22, v11
	ds_read2st64_b32 v[10:11], v20 offset0:2 offset1:4
	v_div_fixup_f32 v9, v15, v9, v21
	s_waitcnt lgkmcnt(1)
	v_fma_f32 v7, -v6, v7, v17
	v_fma_f32 v7, -v9, v8, v7
	;; [unrolled: 1-line block ×3, first 2 shown]
	v_mul_f32_e64 v6, v6, -v14
	s_waitcnt lgkmcnt(0)
	v_fma_f32 v8, -v9, v11, v8
	v_mul_f32_e64 v9, v9, -v10
	s_waitcnt lgkmcnt(0)
	; wave barrier
	ds_write_b32 v4, v7
	ds_write_b32 v1, v8 offset:1024
	ds_write_b32 v1, v6
	ds_write_b32 v5, v9
	v_max_u32_e32 v6, 8, v0
	v_lshlrev_b32_e32 v8, 2, v6
	s_waitcnt lgkmcnt(0)
	; wave barrier
	s_waitcnt lgkmcnt(0)
	v_subrev_u32_e32 v9, 32, v8
	ds_read2_b32 v[6:7], v8 offset0:56 offset1:120
	ds_read_b32 v10, v1
	ds_read_b32 v12, v1 offset:1024
	ds_read_b32 v13, v8 offset:992
	ds_read_b32 v14, v9
	v_add_u32_e32 v8, 8, v0
	s_waitcnt lgkmcnt(3)
	v_div_scale_f32 v11, s[4:5], v6, v6, v10
	v_rcp_f32_e32 v15, v11
	v_cmp_gt_i32_e32 vcc, s8, v8
	v_cndmask_b32_e32 v8, v16, v8, vcc
	v_lshlrev_b32_e32 v20, 2, v8
	v_fma_f32 v9, -v11, v15, 1.0
	v_fmac_f32_e32 v15, v9, v15
	ds_read2st64_b32 v[8:9], v20 offset1:1
	ds_read_b32 v21, v5
	v_div_scale_f32 v17, vcc, v10, v6, v10
	v_mul_f32_e32 v18, v17, v15
	v_fma_f32 v19, -v11, v18, v17
	v_fmac_f32_e32 v18, v19, v15
	s_waitcnt lgkmcnt(0)
	v_div_scale_f32 v19, s[4:5], v9, v9, v21
	v_rcp_f32_e32 v22, v19
	v_fma_f32 v11, -v11, v18, v17
	v_div_fmas_f32 v11, v11, v15, v18
	v_div_fixup_f32 v6, v11, v6, v10
	v_fma_f32 v10, -v19, v22, 1.0
	v_fmac_f32_e32 v22, v10, v22
	v_div_scale_f32 v10, vcc, v21, v9, v21
	v_mul_f32_e32 v11, v10, v22
	v_fma_f32 v15, -v19, v11, v10
	ds_read_b32 v17, v4
	v_fmac_f32_e32 v11, v15, v22
	v_fma_f32 v10, -v19, v11, v10
	v_div_fmas_f32 v15, v10, v22, v11
	ds_read2st64_b32 v[10:11], v20 offset0:2 offset1:4
	v_div_fixup_f32 v9, v15, v9, v21
	s_waitcnt lgkmcnt(1)
	v_fma_f32 v7, -v6, v7, v17
	v_fma_f32 v7, -v9, v8, v7
	;; [unrolled: 1-line block ×3, first 2 shown]
	v_mul_f32_e64 v6, v6, -v14
	s_waitcnt lgkmcnt(0)
	v_fma_f32 v8, -v9, v11, v8
	v_mul_f32_e64 v9, v9, -v10
	s_waitcnt lgkmcnt(0)
	; wave barrier
	ds_write_b32 v4, v7
	ds_write_b32 v1, v8 offset:1024
	ds_write_b32 v1, v6
	ds_write_b32 v5, v9
	v_max_u32_e32 v6, 16, v0
	v_lshlrev_b32_e32 v8, 2, v6
	s_waitcnt lgkmcnt(0)
	; wave barrier
	s_waitcnt lgkmcnt(0)
	v_subrev_u32_e32 v9, 64, v8
	ds_read2_b32 v[6:7], v8 offset0:48 offset1:112
	ds_read_b32 v10, v1
	ds_read_b32 v12, v1 offset:1024
	ds_read_b32 v13, v8 offset:960
	ds_read_b32 v14, v9
	v_add_u32_e32 v8, 16, v0
	s_waitcnt lgkmcnt(3)
	v_div_scale_f32 v11, s[4:5], v6, v6, v10
	v_rcp_f32_e32 v15, v11
	v_cmp_gt_i32_e32 vcc, s8, v8
	v_cndmask_b32_e32 v8, v16, v8, vcc
	v_lshlrev_b32_e32 v19, 2, v8
	v_fma_f32 v9, -v11, v15, 1.0
	v_fmac_f32_e32 v15, v9, v15
	ds_read2st64_b32 v[8:9], v19 offset1:1
	ds_read_b32 v20, v5
	v_div_scale_f32 v16, vcc, v10, v6, v10
	v_mul_f32_e32 v17, v16, v15
	v_fma_f32 v18, -v11, v17, v16
	v_fmac_f32_e32 v17, v18, v15
	s_waitcnt lgkmcnt(0)
	v_div_scale_f32 v18, s[4:5], v9, v9, v20
	v_rcp_f32_e32 v21, v18
	v_fma_f32 v11, -v11, v17, v16
	v_div_fmas_f32 v11, v11, v15, v17
	v_div_fixup_f32 v6, v11, v6, v10
	v_fma_f32 v10, -v18, v21, 1.0
	v_fmac_f32_e32 v21, v10, v21
	v_div_scale_f32 v10, vcc, v20, v9, v20
	v_mul_f32_e32 v11, v10, v21
	v_fma_f32 v15, -v18, v11, v10
	ds_read_b32 v16, v4
	v_fmac_f32_e32 v11, v15, v21
	v_fma_f32 v10, -v18, v11, v10
	v_div_fmas_f32 v15, v10, v21, v11
	ds_read2st64_b32 v[10:11], v19 offset0:2 offset1:4
	v_div_fixup_f32 v9, v15, v9, v20
	s_waitcnt lgkmcnt(1)
	v_fma_f32 v7, -v6, v7, v16
	v_fma_f32 v7, -v9, v8, v7
	;; [unrolled: 1-line block ×3, first 2 shown]
	v_cmp_gt_u32_e32 vcc, 32, v0
	s_waitcnt lgkmcnt(0)
	v_fma_f32 v8, -v9, v11, v8
	v_mul_f32_e64 v6, v6, -v14
	v_mul_f32_e64 v9, v9, -v10
	s_waitcnt lgkmcnt(0)
	; wave barrier
	ds_write_b32 v4, v7
	ds_write_b32 v1, v8 offset:1024
	ds_write_b32 v1, v6
	ds_write_b32 v5, v9
	s_waitcnt lgkmcnt(0)
	; wave barrier
	s_waitcnt lgkmcnt(0)
	s_and_saveexec_b64 s[4:5], vcc
	s_cbranch_execz .LBB13_14
; %bb.9:
	v_or_b32_e32 v6, 32, v0
	v_or_b32_e32 v7, 0x400, v1
	v_cmp_le_i32_e32 vcc, s8, v6
                                        ; implicit-def: $vgpr8
	s_and_saveexec_b64 s[6:7], vcc
	s_xor_b64 s[6:7], exec, s[6:7]
	s_cbranch_execz .LBB13_11
; %bb.10:
	ds_read_b32 v5, v7
	ds_read_b32 v4, v4
	s_waitcnt lgkmcnt(0)
	v_div_scale_f32 v6, s[8:9], v4, v4, v5
	v_rcp_f32_e32 v7, v6
	v_div_scale_f32 v8, vcc, v5, v4, v5
	v_fma_f32 v9, -v6, v7, 1.0
	v_fmac_f32_e32 v7, v9, v7
	v_mul_f32_e32 v9, v8, v7
	v_fma_f32 v10, -v6, v9, v8
	v_fmac_f32_e32 v9, v10, v7
	v_fma_f32 v6, -v6, v9, v8
	v_div_fmas_f32 v6, v6, v7, v9
	v_div_fixup_f32 v8, v6, v4, v5
                                        ; implicit-def: $vgpr4
                                        ; implicit-def: $vgpr5
                                        ; implicit-def: $vgpr7
                                        ; implicit-def: $vgpr6
.LBB13_11:
	s_andn2_saveexec_b64 s[6:7], s[6:7]
	s_cbranch_execz .LBB13_13
; %bb.12:
	ds_read_b32 v0, v5
	ds_read_b32 v10, v1 offset:128
	ds_read2_b32 v[4:5], v4 offset1:32
	s_waitcnt lgkmcnt(1)
	v_mul_f32_e32 v8, v0, v10
	s_waitcnt lgkmcnt(0)
	v_fma_f32 v11, v5, v4, -v8
	v_div_scale_f32 v12, s[8:9], v11, v11, 1.0
	v_rcp_f32_e32 v13, v12
	ds_read2_b32 v[8:9], v7 offset1:32
	v_div_scale_f32 v7, vcc, 1.0, v11, 1.0
	v_fma_f32 v14, -v12, v13, 1.0
	v_fmac_f32_e32 v13, v14, v13
	v_mul_f32_e32 v14, v7, v13
	v_fma_f32 v15, -v12, v14, v7
	v_fmac_f32_e32 v14, v15, v13
	v_fma_f32 v7, -v12, v14, v7
	v_div_fmas_f32 v7, v7, v13, v14
	s_waitcnt lgkmcnt(0)
	v_mul_f32_e32 v0, v0, v9
	v_div_fixup_f32 v7, v7, v11, 1.0
	v_fma_f32 v0, v5, v8, -v0
	v_mul_f32_e32 v0, v7, v0
	ds_write_b32 v1, v0 offset:768
	v_mul_f32_e32 v0, v10, v8
	v_fma_f32 v0, v4, v9, -v0
	v_mul_f32_e32 v8, v7, v0
	v_mov_b32_e32 v0, v6
.LBB13_13:
	s_or_b64 exec, exec, s[6:7]
	v_lshlrev_b32_e32 v0, 2, v0
	ds_write_b32 v0, v8 offset:768
.LBB13_14:
	s_or_b64 exec, exec, s[4:5]
	s_waitcnt lgkmcnt(0)
	; wave barrier
	s_waitcnt lgkmcnt(0)
	s_and_saveexec_b64 s[4:5], s[0:1]
	s_cbranch_execz .LBB13_16
; %bb.15:
	ds_read_b32 v5, v1 offset:768
	v_lshlrev_b64 v[2:3], 2, v[2:3]
	v_mov_b32_e32 v4, s3
	v_add_co_u32_e32 v0, vcc, s2, v2
	v_addc_co_u32_e32 v1, vcc, v4, v3, vcc
	s_waitcnt lgkmcnt(0)
	global_store_dword v[0:1], v5, off
.LBB13_16:
	s_endpgm
	.section	.rodata,"a",@progbits
	.p2align	6, 0x0
	.amdhsa_kernel _ZN9rocsparseL44gtsv_nopivot_strided_batch_pcr_shared_kernelILj64EfEEviiiPKT0_S3_S3_PS1_
		.amdhsa_group_segment_fixed_size 1280
		.amdhsa_private_segment_fixed_size 0
		.amdhsa_kernarg_size 48
		.amdhsa_user_sgpr_count 6
		.amdhsa_user_sgpr_private_segment_buffer 1
		.amdhsa_user_sgpr_dispatch_ptr 0
		.amdhsa_user_sgpr_queue_ptr 0
		.amdhsa_user_sgpr_kernarg_segment_ptr 1
		.amdhsa_user_sgpr_dispatch_id 0
		.amdhsa_user_sgpr_flat_scratch_init 0
		.amdhsa_user_sgpr_kernarg_preload_length 0
		.amdhsa_user_sgpr_kernarg_preload_offset 0
		.amdhsa_user_sgpr_private_segment_size 0
		.amdhsa_uses_dynamic_stack 0
		.amdhsa_system_sgpr_private_segment_wavefront_offset 0
		.amdhsa_system_sgpr_workgroup_id_x 1
		.amdhsa_system_sgpr_workgroup_id_y 0
		.amdhsa_system_sgpr_workgroup_id_z 0
		.amdhsa_system_sgpr_workgroup_info 0
		.amdhsa_system_vgpr_workitem_id 0
		.amdhsa_next_free_vgpr 23
		.amdhsa_next_free_sgpr 10
		.amdhsa_accum_offset 24
		.amdhsa_reserve_vcc 1
		.amdhsa_reserve_flat_scratch 0
		.amdhsa_float_round_mode_32 0
		.amdhsa_float_round_mode_16_64 0
		.amdhsa_float_denorm_mode_32 3
		.amdhsa_float_denorm_mode_16_64 3
		.amdhsa_dx10_clamp 1
		.amdhsa_ieee_mode 1
		.amdhsa_fp16_overflow 0
		.amdhsa_tg_split 0
		.amdhsa_exception_fp_ieee_invalid_op 0
		.amdhsa_exception_fp_denorm_src 0
		.amdhsa_exception_fp_ieee_div_zero 0
		.amdhsa_exception_fp_ieee_overflow 0
		.amdhsa_exception_fp_ieee_underflow 0
		.amdhsa_exception_fp_ieee_inexact 0
		.amdhsa_exception_int_div_zero 0
	.end_amdhsa_kernel
	.section	.text._ZN9rocsparseL44gtsv_nopivot_strided_batch_pcr_shared_kernelILj64EfEEviiiPKT0_S3_S3_PS1_,"axG",@progbits,_ZN9rocsparseL44gtsv_nopivot_strided_batch_pcr_shared_kernelILj64EfEEviiiPKT0_S3_S3_PS1_,comdat
.Lfunc_end13:
	.size	_ZN9rocsparseL44gtsv_nopivot_strided_batch_pcr_shared_kernelILj64EfEEviiiPKT0_S3_S3_PS1_, .Lfunc_end13-_ZN9rocsparseL44gtsv_nopivot_strided_batch_pcr_shared_kernelILj64EfEEviiiPKT0_S3_S3_PS1_
                                        ; -- End function
	.section	.AMDGPU.csdata,"",@progbits
; Kernel info:
; codeLenInByte = 2500
; NumSgprs: 14
; NumVgprs: 23
; NumAgprs: 0
; TotalNumVgprs: 23
; ScratchSize: 0
; MemoryBound: 0
; FloatMode: 240
; IeeeMode: 1
; LDSByteSize: 1280 bytes/workgroup (compile time only)
; SGPRBlocks: 1
; VGPRBlocks: 2
; NumSGPRsForWavesPerEU: 14
; NumVGPRsForWavesPerEU: 23
; AccumOffset: 24
; Occupancy: 8
; WaveLimiterHint : 0
; COMPUTE_PGM_RSRC2:SCRATCH_EN: 0
; COMPUTE_PGM_RSRC2:USER_SGPR: 6
; COMPUTE_PGM_RSRC2:TRAP_HANDLER: 0
; COMPUTE_PGM_RSRC2:TGID_X_EN: 1
; COMPUTE_PGM_RSRC2:TGID_Y_EN: 0
; COMPUTE_PGM_RSRC2:TGID_Z_EN: 0
; COMPUTE_PGM_RSRC2:TIDIG_COMP_CNT: 0
; COMPUTE_PGM_RSRC3_GFX90A:ACCUM_OFFSET: 5
; COMPUTE_PGM_RSRC3_GFX90A:TG_SPLIT: 0
	.section	.text._ZN9rocsparseL44gtsv_nopivot_strided_batch_pcr_shared_kernelILj128EfEEviiiPKT0_S3_S3_PS1_,"axG",@progbits,_ZN9rocsparseL44gtsv_nopivot_strided_batch_pcr_shared_kernelILj128EfEEviiiPKT0_S3_S3_PS1_,comdat
	.globl	_ZN9rocsparseL44gtsv_nopivot_strided_batch_pcr_shared_kernelILj128EfEEviiiPKT0_S3_S3_PS1_ ; -- Begin function _ZN9rocsparseL44gtsv_nopivot_strided_batch_pcr_shared_kernelILj128EfEEviiiPKT0_S3_S3_PS1_
	.p2align	8
	.type	_ZN9rocsparseL44gtsv_nopivot_strided_batch_pcr_shared_kernelILj128EfEEviiiPKT0_S3_S3_PS1_,@function
_ZN9rocsparseL44gtsv_nopivot_strided_batch_pcr_shared_kernelILj128EfEEviiiPKT0_S3_S3_PS1_: ; @_ZN9rocsparseL44gtsv_nopivot_strided_batch_pcr_shared_kernelILj128EfEEviiiPKT0_S3_S3_PS1_
; %bb.0:
	s_load_dword s0, s[4:5], 0x8
	s_load_dword s8, s[4:5], 0x0
	v_mov_b32_e32 v4, 0
	v_mov_b32_e32 v5, 0
	s_waitcnt lgkmcnt(0)
	s_mul_i32 s6, s6, s0
	v_add_u32_e32 v2, s6, v0
	v_cmp_gt_i32_e64 s[0:1], s8, v0
	v_ashrrev_i32_e32 v3, 31, v2
	s_and_saveexec_b64 s[2:3], s[0:1]
	s_cbranch_execz .LBB14_2
; %bb.1:
	s_load_dwordx2 s[6:7], s[4:5], 0x10
	v_lshlrev_b64 v[6:7], 2, v[2:3]
	s_waitcnt lgkmcnt(0)
	v_mov_b32_e32 v1, s7
	v_add_co_u32_e32 v6, vcc, s6, v6
	v_addc_co_u32_e32 v7, vcc, v1, v7, vcc
	global_load_dword v5, v[6:7], off
.LBB14_2:
	s_or_b64 exec, exec, s[2:3]
	v_lshlrev_b32_e32 v1, 2, v0
	s_waitcnt vmcnt(0)
	ds_write_b32 v1, v5
	s_and_saveexec_b64 s[2:3], s[0:1]
	s_cbranch_execz .LBB14_4
; %bb.3:
	s_load_dwordx2 s[6:7], s[4:5], 0x18
	v_lshlrev_b64 v[4:5], 2, v[2:3]
	s_waitcnt lgkmcnt(0)
	v_mov_b32_e32 v6, s7
	v_add_co_u32_e32 v4, vcc, s6, v4
	v_addc_co_u32_e32 v5, vcc, v6, v5, vcc
	global_load_dword v4, v[4:5], off
.LBB14_4:
	s_or_b64 exec, exec, s[2:3]
	s_load_dwordx2 s[2:3], s[4:5], 0x28
	v_mov_b32_e32 v6, 0
	v_mov_b32_e32 v7, 0
	s_waitcnt vmcnt(0)
	ds_write_b32 v1, v4 offset:512
	s_and_saveexec_b64 s[6:7], s[0:1]
	s_cbranch_execz .LBB14_6
; %bb.5:
	s_load_dwordx2 s[4:5], s[4:5], 0x20
	v_lshlrev_b64 v[4:5], 2, v[2:3]
	s_waitcnt lgkmcnt(0)
	v_mov_b32_e32 v7, s5
	v_add_co_u32_e32 v4, vcc, s4, v4
	v_addc_co_u32_e32 v5, vcc, v7, v5, vcc
	global_load_dword v7, v[4:5], off
.LBB14_6:
	s_or_b64 exec, exec, s[6:7]
	v_or_b32_e32 v4, 0x200, v1
	v_or_b32_e32 v5, 0x400, v1
	s_waitcnt vmcnt(0)
	ds_write_b32 v1, v7 offset:1024
	s_and_saveexec_b64 s[4:5], s[0:1]
	s_cbranch_execz .LBB14_8
; %bb.7:
	v_lshlrev_b64 v[6:7], 2, v[2:3]
	s_waitcnt lgkmcnt(0)
	v_mov_b32_e32 v8, s3
	v_add_co_u32_e32 v6, vcc, s2, v6
	v_addc_co_u32_e32 v7, vcc, v8, v7, vcc
	global_load_dword v6, v[6:7], off
.LBB14_8:
	s_or_b64 exec, exec, s[4:5]
	s_waitcnt vmcnt(0)
	ds_write_b32 v1, v6 offset:2048
	v_max_u32_e32 v6, 1, v0
	v_lshlrev_b32_e32 v9, 2, v6
	v_add_u32_e32 v10, -4, v9
	s_waitcnt lgkmcnt(0)
	s_barrier
	ds_read2_b32 v[6:7], v9 offset0:127 offset1:255
	ds_read_b32 v11, v1
	ds_read_b32 v12, v1 offset:2048
	ds_read_b32 v13, v9 offset:2044
	ds_read_b32 v14, v5
	ds_read_b32 v15, v4
	;; [unrolled: 1-line block ×3, first 2 shown]
	s_waitcnt lgkmcnt(5)
	v_div_scale_f32 v10, s[4:5], v6, v6, v11
	v_rcp_f32_e32 v17, v10
	s_add_i32 s6, s8, -1
	v_add_u32_e32 v8, 1, v0
	v_mov_b32_e32 v18, s6
	v_cmp_gt_i32_e32 vcc, s8, v8
	v_cndmask_b32_e32 v8, v18, v8, vcc
	v_fma_f32 v9, -v10, v17, 1.0
	v_lshlrev_b32_e32 v21, 2, v8
	v_fmac_f32_e32 v17, v9, v17
	ds_read2st64_b32 v[8:9], v21 offset1:2
	v_div_scale_f32 v19, vcc, v11, v6, v11
	v_mul_f32_e32 v20, v19, v17
	v_fma_f32 v22, -v10, v20, v19
	v_fmac_f32_e32 v20, v22, v17
	v_fma_f32 v10, -v10, v20, v19
	s_waitcnt lgkmcnt(0)
	v_div_scale_f32 v19, s[4:5], v9, v9, v14
	v_rcp_f32_e32 v22, v19
	v_div_fmas_f32 v10, v10, v17, v20
	v_div_fixup_f32 v6, v10, v6, v11
	v_fma_f32 v7, -v6, v7, v15
	v_fma_f32 v10, -v19, v22, 1.0
	v_fmac_f32_e32 v22, v10, v22
	v_div_scale_f32 v10, vcc, v14, v9, v14
	v_mul_f32_e32 v11, v10, v22
	v_fma_f32 v17, -v19, v11, v10
	v_fmac_f32_e32 v11, v17, v22
	v_fma_f32 v10, -v19, v11, v10
	v_div_fmas_f32 v17, v10, v22, v11
	ds_read2st64_b32 v[10:11], v21 offset0:4 offset1:8
	v_div_fixup_f32 v9, v17, v9, v14
	v_fma_f32 v7, -v9, v8, v7
	v_fma_f32 v8, -v6, v13, v12
	v_mul_f32_e64 v6, v6, -v16
	s_waitcnt lgkmcnt(0)
	v_fma_f32 v8, -v9, v11, v8
	v_mul_f32_e64 v9, v9, -v10
	s_barrier
	ds_write_b32 v4, v7
	ds_write_b32 v1, v8 offset:2048
	ds_write_b32 v1, v6
	ds_write_b32 v5, v9
	v_max_u32_e32 v6, 2, v0
	v_lshlrev_b32_e32 v8, 2, v6
	s_waitcnt lgkmcnt(0)
	s_barrier
	v_add_u32_e32 v9, -8, v8
	ds_read2_b32 v[6:7], v8 offset0:126 offset1:254
	ds_read_b32 v10, v1
	ds_read_b32 v12, v1 offset:2048
	ds_read_b32 v13, v8 offset:2040
	ds_read_b32 v14, v5
	ds_read_b32 v15, v4
	;; [unrolled: 1-line block ×3, first 2 shown]
	s_waitcnt lgkmcnt(5)
	v_div_scale_f32 v11, s[4:5], v6, v6, v10
	v_rcp_f32_e32 v17, v11
	v_add_u32_e32 v8, 2, v0
	v_cmp_gt_i32_e32 vcc, s8, v8
	v_cndmask_b32_e32 v8, v18, v8, vcc
	v_fma_f32 v9, -v11, v17, 1.0
	v_lshlrev_b32_e32 v21, 2, v8
	v_fmac_f32_e32 v17, v9, v17
	ds_read2st64_b32 v[8:9], v21 offset1:2
	v_div_scale_f32 v19, vcc, v10, v6, v10
	v_mul_f32_e32 v20, v19, v17
	v_fma_f32 v22, -v11, v20, v19
	v_fmac_f32_e32 v20, v22, v17
	v_fma_f32 v11, -v11, v20, v19
	s_waitcnt lgkmcnt(0)
	v_div_scale_f32 v19, s[4:5], v9, v9, v14
	v_rcp_f32_e32 v22, v19
	v_div_fmas_f32 v11, v11, v17, v20
	v_div_fixup_f32 v6, v11, v6, v10
	v_fma_f32 v7, -v6, v7, v15
	v_fma_f32 v10, -v19, v22, 1.0
	v_fmac_f32_e32 v22, v10, v22
	v_div_scale_f32 v10, vcc, v14, v9, v14
	v_mul_f32_e32 v11, v10, v22
	v_fma_f32 v17, -v19, v11, v10
	v_fmac_f32_e32 v11, v17, v22
	v_fma_f32 v10, -v19, v11, v10
	v_div_fmas_f32 v17, v10, v22, v11
	ds_read2st64_b32 v[10:11], v21 offset0:4 offset1:8
	v_div_fixup_f32 v9, v17, v9, v14
	v_fma_f32 v7, -v9, v8, v7
	v_fma_f32 v8, -v6, v13, v12
	v_mul_f32_e64 v6, v6, -v16
	s_waitcnt lgkmcnt(0)
	v_fma_f32 v8, -v9, v11, v8
	v_mul_f32_e64 v9, v9, -v10
	s_barrier
	ds_write_b32 v4, v7
	ds_write_b32 v1, v8 offset:2048
	ds_write_b32 v1, v6
	ds_write_b32 v5, v9
	v_max_u32_e32 v6, 4, v0
	v_lshlrev_b32_e32 v8, 2, v6
	s_waitcnt lgkmcnt(0)
	s_barrier
	v_add_u32_e32 v9, -16, v8
	ds_read2_b32 v[6:7], v8 offset0:124 offset1:252
	ds_read_b32 v10, v1
	ds_read_b32 v12, v1 offset:2048
	ds_read_b32 v13, v8 offset:2032
	ds_read_b32 v14, v5
	ds_read_b32 v15, v4
	;; [unrolled: 1-line block ×3, first 2 shown]
	s_waitcnt lgkmcnt(5)
	v_div_scale_f32 v11, s[4:5], v6, v6, v10
	v_rcp_f32_e32 v17, v11
	v_add_u32_e32 v8, 4, v0
	v_cmp_gt_i32_e32 vcc, s8, v8
	v_cndmask_b32_e32 v8, v18, v8, vcc
	v_fma_f32 v9, -v11, v17, 1.0
	v_lshlrev_b32_e32 v21, 2, v8
	v_fmac_f32_e32 v17, v9, v17
	ds_read2st64_b32 v[8:9], v21 offset1:2
	v_div_scale_f32 v19, vcc, v10, v6, v10
	v_mul_f32_e32 v20, v19, v17
	v_fma_f32 v22, -v11, v20, v19
	v_fmac_f32_e32 v20, v22, v17
	v_fma_f32 v11, -v11, v20, v19
	s_waitcnt lgkmcnt(0)
	v_div_scale_f32 v19, s[4:5], v9, v9, v14
	v_rcp_f32_e32 v22, v19
	v_div_fmas_f32 v11, v11, v17, v20
	v_div_fixup_f32 v6, v11, v6, v10
	v_fma_f32 v7, -v6, v7, v15
	v_fma_f32 v10, -v19, v22, 1.0
	v_fmac_f32_e32 v22, v10, v22
	v_div_scale_f32 v10, vcc, v14, v9, v14
	v_mul_f32_e32 v11, v10, v22
	v_fma_f32 v17, -v19, v11, v10
	v_fmac_f32_e32 v11, v17, v22
	v_fma_f32 v10, -v19, v11, v10
	v_div_fmas_f32 v17, v10, v22, v11
	ds_read2st64_b32 v[10:11], v21 offset0:4 offset1:8
	v_div_fixup_f32 v9, v17, v9, v14
	v_fma_f32 v7, -v9, v8, v7
	v_fma_f32 v8, -v6, v13, v12
	v_mul_f32_e64 v6, v6, -v16
	s_waitcnt lgkmcnt(0)
	v_fma_f32 v8, -v9, v11, v8
	v_mul_f32_e64 v9, v9, -v10
	s_barrier
	ds_write_b32 v4, v7
	ds_write_b32 v1, v8 offset:2048
	ds_write_b32 v1, v6
	ds_write_b32 v5, v9
	v_max_u32_e32 v6, 8, v0
	v_lshlrev_b32_e32 v8, 2, v6
	s_waitcnt lgkmcnt(0)
	s_barrier
	v_subrev_u32_e32 v9, 32, v8
	ds_read2_b32 v[6:7], v8 offset0:120 offset1:248
	ds_read_b32 v10, v1
	ds_read_b32 v12, v1 offset:2048
	ds_read_b32 v13, v8 offset:2016
	ds_read_b32 v14, v5
	ds_read_b32 v15, v4
	;; [unrolled: 1-line block ×3, first 2 shown]
	s_waitcnt lgkmcnt(5)
	v_div_scale_f32 v11, s[4:5], v6, v6, v10
	v_rcp_f32_e32 v17, v11
	v_add_u32_e32 v8, 8, v0
	v_cmp_gt_i32_e32 vcc, s8, v8
	v_cndmask_b32_e32 v8, v18, v8, vcc
	v_fma_f32 v9, -v11, v17, 1.0
	v_lshlrev_b32_e32 v21, 2, v8
	v_fmac_f32_e32 v17, v9, v17
	ds_read2st64_b32 v[8:9], v21 offset1:2
	v_div_scale_f32 v19, vcc, v10, v6, v10
	v_mul_f32_e32 v20, v19, v17
	v_fma_f32 v22, -v11, v20, v19
	v_fmac_f32_e32 v20, v22, v17
	v_fma_f32 v11, -v11, v20, v19
	s_waitcnt lgkmcnt(0)
	v_div_scale_f32 v19, s[4:5], v9, v9, v14
	v_rcp_f32_e32 v22, v19
	v_div_fmas_f32 v11, v11, v17, v20
	v_div_fixup_f32 v6, v11, v6, v10
	v_fma_f32 v7, -v6, v7, v15
	v_fma_f32 v10, -v19, v22, 1.0
	v_fmac_f32_e32 v22, v10, v22
	v_div_scale_f32 v10, vcc, v14, v9, v14
	v_mul_f32_e32 v11, v10, v22
	v_fma_f32 v17, -v19, v11, v10
	v_fmac_f32_e32 v11, v17, v22
	v_fma_f32 v10, -v19, v11, v10
	v_div_fmas_f32 v17, v10, v22, v11
	ds_read2st64_b32 v[10:11], v21 offset0:4 offset1:8
	v_div_fixup_f32 v9, v17, v9, v14
	v_fma_f32 v7, -v9, v8, v7
	v_fma_f32 v8, -v6, v13, v12
	v_mul_f32_e64 v6, v6, -v16
	s_waitcnt lgkmcnt(0)
	v_fma_f32 v8, -v9, v11, v8
	v_mul_f32_e64 v9, v9, -v10
	s_barrier
	ds_write_b32 v4, v7
	ds_write_b32 v1, v8 offset:2048
	ds_write_b32 v1, v6
	ds_write_b32 v5, v9
	v_max_u32_e32 v6, 16, v0
	v_lshlrev_b32_e32 v8, 2, v6
	s_waitcnt lgkmcnt(0)
	s_barrier
	v_subrev_u32_e32 v9, 64, v8
	ds_read2_b32 v[6:7], v8 offset0:112 offset1:240
	ds_read_b32 v10, v1
	ds_read_b32 v12, v1 offset:2048
	ds_read_b32 v13, v8 offset:1984
	ds_read_b32 v14, v5
	ds_read_b32 v15, v4
	;; [unrolled: 1-line block ×3, first 2 shown]
	s_waitcnt lgkmcnt(5)
	v_div_scale_f32 v11, s[4:5], v6, v6, v10
	v_rcp_f32_e32 v17, v11
	v_add_u32_e32 v8, 16, v0
	v_cmp_gt_i32_e32 vcc, s8, v8
	v_cndmask_b32_e32 v8, v18, v8, vcc
	v_fma_f32 v9, -v11, v17, 1.0
	v_lshlrev_b32_e32 v21, 2, v8
	v_fmac_f32_e32 v17, v9, v17
	ds_read2st64_b32 v[8:9], v21 offset1:2
	v_div_scale_f32 v19, vcc, v10, v6, v10
	v_mul_f32_e32 v20, v19, v17
	v_fma_f32 v22, -v11, v20, v19
	v_fmac_f32_e32 v20, v22, v17
	v_fma_f32 v11, -v11, v20, v19
	s_waitcnt lgkmcnt(0)
	v_div_scale_f32 v19, s[4:5], v9, v9, v14
	v_rcp_f32_e32 v22, v19
	v_div_fmas_f32 v11, v11, v17, v20
	v_div_fixup_f32 v6, v11, v6, v10
	v_fma_f32 v7, -v6, v7, v15
	v_fma_f32 v10, -v19, v22, 1.0
	v_fmac_f32_e32 v22, v10, v22
	v_div_scale_f32 v10, vcc, v14, v9, v14
	v_mul_f32_e32 v11, v10, v22
	v_fma_f32 v17, -v19, v11, v10
	v_fmac_f32_e32 v11, v17, v22
	v_fma_f32 v10, -v19, v11, v10
	v_div_fmas_f32 v17, v10, v22, v11
	ds_read2st64_b32 v[10:11], v21 offset0:4 offset1:8
	v_div_fixup_f32 v9, v17, v9, v14
	v_fma_f32 v7, -v9, v8, v7
	v_fma_f32 v8, -v6, v13, v12
	v_mul_f32_e64 v6, v6, -v16
	s_waitcnt lgkmcnt(0)
	v_fma_f32 v8, -v9, v11, v8
	v_mul_f32_e64 v9, v9, -v10
	s_barrier
	ds_write_b32 v4, v7
	ds_write_b32 v1, v8 offset:2048
	ds_write_b32 v1, v6
	ds_write_b32 v5, v9
	v_max_u32_e32 v6, 32, v0
	v_lshlrev_b32_e32 v8, 2, v6
	s_waitcnt lgkmcnt(0)
	s_barrier
	v_add_u32_e32 v9, 0xffffff80, v8
	ds_read2_b32 v[6:7], v8 offset0:96 offset1:224
	ds_read_b32 v10, v1
	ds_read_b32 v12, v1 offset:2048
	ds_read_b32 v13, v8 offset:1920
	ds_read_b32 v14, v5
	ds_read_b32 v15, v4
	;; [unrolled: 1-line block ×3, first 2 shown]
	s_waitcnt lgkmcnt(5)
	v_div_scale_f32 v11, s[4:5], v6, v6, v10
	v_rcp_f32_e32 v17, v11
	v_add_u32_e32 v8, 32, v0
	v_cmp_gt_i32_e32 vcc, s8, v8
	v_cndmask_b32_e32 v8, v18, v8, vcc
	v_fma_f32 v9, -v11, v17, 1.0
	v_lshlrev_b32_e32 v20, 2, v8
	v_fmac_f32_e32 v17, v9, v17
	ds_read2st64_b32 v[8:9], v20 offset1:2
	v_div_scale_f32 v18, vcc, v10, v6, v10
	v_mul_f32_e32 v19, v18, v17
	v_fma_f32 v21, -v11, v19, v18
	v_fmac_f32_e32 v19, v21, v17
	v_fma_f32 v11, -v11, v19, v18
	s_waitcnt lgkmcnt(0)
	v_div_scale_f32 v18, s[4:5], v9, v9, v14
	v_rcp_f32_e32 v21, v18
	v_div_fmas_f32 v11, v11, v17, v19
	v_div_fixup_f32 v6, v11, v6, v10
	v_fma_f32 v7, -v6, v7, v15
	v_fma_f32 v10, -v18, v21, 1.0
	v_fmac_f32_e32 v21, v10, v21
	v_div_scale_f32 v10, vcc, v14, v9, v14
	v_mul_f32_e32 v11, v10, v21
	v_fma_f32 v17, -v18, v11, v10
	v_fmac_f32_e32 v11, v17, v21
	v_fma_f32 v10, -v18, v11, v10
	v_div_fmas_f32 v17, v10, v21, v11
	ds_read2st64_b32 v[10:11], v20 offset0:4 offset1:8
	v_div_fixup_f32 v9, v17, v9, v14
	v_fma_f32 v7, -v9, v8, v7
	v_fma_f32 v8, -v6, v13, v12
	v_cmp_gt_u32_e32 vcc, 64, v0
	s_waitcnt lgkmcnt(0)
	v_fma_f32 v8, -v9, v11, v8
	v_mul_f32_e64 v6, v6, -v16
	v_mul_f32_e64 v9, v9, -v10
	s_barrier
	ds_write_b32 v4, v7
	ds_write_b32 v1, v8 offset:2048
	ds_write_b32 v1, v6
	ds_write_b32 v5, v9
	s_waitcnt lgkmcnt(0)
	s_barrier
	s_and_saveexec_b64 s[4:5], vcc
	s_cbranch_execz .LBB14_14
; %bb.9:
	v_or_b32_e32 v6, 64, v0
	v_or_b32_e32 v7, 0x800, v1
	v_cmp_le_i32_e32 vcc, s8, v6
                                        ; implicit-def: $vgpr8
	s_and_saveexec_b64 s[6:7], vcc
	s_xor_b64 s[6:7], exec, s[6:7]
	s_cbranch_execz .LBB14_11
; %bb.10:
	ds_read_b32 v5, v7
	ds_read_b32 v4, v4
	s_waitcnt lgkmcnt(0)
	v_div_scale_f32 v6, s[8:9], v4, v4, v5
	v_rcp_f32_e32 v7, v6
	v_div_scale_f32 v8, vcc, v5, v4, v5
	v_fma_f32 v9, -v6, v7, 1.0
	v_fmac_f32_e32 v7, v9, v7
	v_mul_f32_e32 v9, v8, v7
	v_fma_f32 v10, -v6, v9, v8
	v_fmac_f32_e32 v9, v10, v7
	v_fma_f32 v6, -v6, v9, v8
	v_div_fmas_f32 v6, v6, v7, v9
	v_div_fixup_f32 v8, v6, v4, v5
                                        ; implicit-def: $vgpr4
                                        ; implicit-def: $vgpr5
                                        ; implicit-def: $vgpr7
                                        ; implicit-def: $vgpr6
.LBB14_11:
	s_andn2_saveexec_b64 s[6:7], s[6:7]
	s_cbranch_execz .LBB14_13
; %bb.12:
	ds_read_b32 v0, v5
	ds_read_b32 v10, v1 offset:256
	ds_read2st64_b32 v[4:5], v4 offset1:1
	s_waitcnt lgkmcnt(1)
	v_mul_f32_e32 v8, v0, v10
	s_waitcnt lgkmcnt(0)
	v_fma_f32 v11, v5, v4, -v8
	v_div_scale_f32 v12, s[8:9], v11, v11, 1.0
	v_rcp_f32_e32 v13, v12
	ds_read2st64_b32 v[8:9], v7 offset1:1
	v_div_scale_f32 v7, vcc, 1.0, v11, 1.0
	v_fma_f32 v14, -v12, v13, 1.0
	v_fmac_f32_e32 v13, v14, v13
	v_mul_f32_e32 v14, v7, v13
	v_fma_f32 v15, -v12, v14, v7
	v_fmac_f32_e32 v14, v15, v13
	v_fma_f32 v7, -v12, v14, v7
	v_div_fmas_f32 v7, v7, v13, v14
	s_waitcnt lgkmcnt(0)
	v_mul_f32_e32 v0, v0, v9
	v_div_fixup_f32 v7, v7, v11, 1.0
	v_fma_f32 v0, v5, v8, -v0
	v_mul_f32_e32 v0, v7, v0
	ds_write_b32 v1, v0 offset:1536
	v_mul_f32_e32 v0, v10, v8
	v_fma_f32 v0, v4, v9, -v0
	v_mul_f32_e32 v8, v7, v0
	v_mov_b32_e32 v0, v6
.LBB14_13:
	s_or_b64 exec, exec, s[6:7]
	v_lshlrev_b32_e32 v0, 2, v0
	ds_write_b32 v0, v8 offset:1536
.LBB14_14:
	s_or_b64 exec, exec, s[4:5]
	s_waitcnt lgkmcnt(0)
	s_barrier
	s_and_saveexec_b64 s[4:5], s[0:1]
	s_cbranch_execz .LBB14_16
; %bb.15:
	ds_read_b32 v5, v1 offset:1536
	v_lshlrev_b64 v[2:3], 2, v[2:3]
	v_mov_b32_e32 v4, s3
	v_add_co_u32_e32 v0, vcc, s2, v2
	v_addc_co_u32_e32 v1, vcc, v4, v3, vcc
	s_waitcnt lgkmcnt(0)
	global_store_dword v[0:1], v5, off
.LBB14_16:
	s_endpgm
	.section	.rodata,"a",@progbits
	.p2align	6, 0x0
	.amdhsa_kernel _ZN9rocsparseL44gtsv_nopivot_strided_batch_pcr_shared_kernelILj128EfEEviiiPKT0_S3_S3_PS1_
		.amdhsa_group_segment_fixed_size 2560
		.amdhsa_private_segment_fixed_size 0
		.amdhsa_kernarg_size 48
		.amdhsa_user_sgpr_count 6
		.amdhsa_user_sgpr_private_segment_buffer 1
		.amdhsa_user_sgpr_dispatch_ptr 0
		.amdhsa_user_sgpr_queue_ptr 0
		.amdhsa_user_sgpr_kernarg_segment_ptr 1
		.amdhsa_user_sgpr_dispatch_id 0
		.amdhsa_user_sgpr_flat_scratch_init 0
		.amdhsa_user_sgpr_kernarg_preload_length 0
		.amdhsa_user_sgpr_kernarg_preload_offset 0
		.amdhsa_user_sgpr_private_segment_size 0
		.amdhsa_uses_dynamic_stack 0
		.amdhsa_system_sgpr_private_segment_wavefront_offset 0
		.amdhsa_system_sgpr_workgroup_id_x 1
		.amdhsa_system_sgpr_workgroup_id_y 0
		.amdhsa_system_sgpr_workgroup_id_z 0
		.amdhsa_system_sgpr_workgroup_info 0
		.amdhsa_system_vgpr_workitem_id 0
		.amdhsa_next_free_vgpr 23
		.amdhsa_next_free_sgpr 10
		.amdhsa_accum_offset 24
		.amdhsa_reserve_vcc 1
		.amdhsa_reserve_flat_scratch 0
		.amdhsa_float_round_mode_32 0
		.amdhsa_float_round_mode_16_64 0
		.amdhsa_float_denorm_mode_32 3
		.amdhsa_float_denorm_mode_16_64 3
		.amdhsa_dx10_clamp 1
		.amdhsa_ieee_mode 1
		.amdhsa_fp16_overflow 0
		.amdhsa_tg_split 0
		.amdhsa_exception_fp_ieee_invalid_op 0
		.amdhsa_exception_fp_denorm_src 0
		.amdhsa_exception_fp_ieee_div_zero 0
		.amdhsa_exception_fp_ieee_overflow 0
		.amdhsa_exception_fp_ieee_underflow 0
		.amdhsa_exception_fp_ieee_inexact 0
		.amdhsa_exception_int_div_zero 0
	.end_amdhsa_kernel
	.section	.text._ZN9rocsparseL44gtsv_nopivot_strided_batch_pcr_shared_kernelILj128EfEEviiiPKT0_S3_S3_PS1_,"axG",@progbits,_ZN9rocsparseL44gtsv_nopivot_strided_batch_pcr_shared_kernelILj128EfEEviiiPKT0_S3_S3_PS1_,comdat
.Lfunc_end14:
	.size	_ZN9rocsparseL44gtsv_nopivot_strided_batch_pcr_shared_kernelILj128EfEEviiiPKT0_S3_S3_PS1_, .Lfunc_end14-_ZN9rocsparseL44gtsv_nopivot_strided_batch_pcr_shared_kernelILj128EfEEviiiPKT0_S3_S3_PS1_
                                        ; -- End function
	.section	.AMDGPU.csdata,"",@progbits
; Kernel info:
; codeLenInByte = 2832
; NumSgprs: 14
; NumVgprs: 23
; NumAgprs: 0
; TotalNumVgprs: 23
; ScratchSize: 0
; MemoryBound: 0
; FloatMode: 240
; IeeeMode: 1
; LDSByteSize: 2560 bytes/workgroup (compile time only)
; SGPRBlocks: 1
; VGPRBlocks: 2
; NumSGPRsForWavesPerEU: 14
; NumVGPRsForWavesPerEU: 23
; AccumOffset: 24
; Occupancy: 8
; WaveLimiterHint : 0
; COMPUTE_PGM_RSRC2:SCRATCH_EN: 0
; COMPUTE_PGM_RSRC2:USER_SGPR: 6
; COMPUTE_PGM_RSRC2:TRAP_HANDLER: 0
; COMPUTE_PGM_RSRC2:TGID_X_EN: 1
; COMPUTE_PGM_RSRC2:TGID_Y_EN: 0
; COMPUTE_PGM_RSRC2:TGID_Z_EN: 0
; COMPUTE_PGM_RSRC2:TIDIG_COMP_CNT: 0
; COMPUTE_PGM_RSRC3_GFX90A:ACCUM_OFFSET: 5
; COMPUTE_PGM_RSRC3_GFX90A:TG_SPLIT: 0
	.section	.text._ZN9rocsparseL44gtsv_nopivot_strided_batch_pcr_shared_kernelILj256EfEEviiiPKT0_S3_S3_PS1_,"axG",@progbits,_ZN9rocsparseL44gtsv_nopivot_strided_batch_pcr_shared_kernelILj256EfEEviiiPKT0_S3_S3_PS1_,comdat
	.globl	_ZN9rocsparseL44gtsv_nopivot_strided_batch_pcr_shared_kernelILj256EfEEviiiPKT0_S3_S3_PS1_ ; -- Begin function _ZN9rocsparseL44gtsv_nopivot_strided_batch_pcr_shared_kernelILj256EfEEviiiPKT0_S3_S3_PS1_
	.p2align	8
	.type	_ZN9rocsparseL44gtsv_nopivot_strided_batch_pcr_shared_kernelILj256EfEEviiiPKT0_S3_S3_PS1_,@function
_ZN9rocsparseL44gtsv_nopivot_strided_batch_pcr_shared_kernelILj256EfEEviiiPKT0_S3_S3_PS1_: ; @_ZN9rocsparseL44gtsv_nopivot_strided_batch_pcr_shared_kernelILj256EfEEviiiPKT0_S3_S3_PS1_
; %bb.0:
	s_load_dword s0, s[4:5], 0x8
	s_load_dword s8, s[4:5], 0x0
	v_mov_b32_e32 v4, 0
	v_mov_b32_e32 v5, 0
	s_waitcnt lgkmcnt(0)
	s_mul_i32 s6, s6, s0
	v_add_u32_e32 v2, s6, v0
	v_cmp_gt_i32_e64 s[0:1], s8, v0
	v_ashrrev_i32_e32 v3, 31, v2
	s_and_saveexec_b64 s[2:3], s[0:1]
	s_cbranch_execz .LBB15_2
; %bb.1:
	s_load_dwordx2 s[6:7], s[4:5], 0x10
	v_lshlrev_b64 v[6:7], 2, v[2:3]
	s_waitcnt lgkmcnt(0)
	v_mov_b32_e32 v1, s7
	v_add_co_u32_e32 v6, vcc, s6, v6
	v_addc_co_u32_e32 v7, vcc, v1, v7, vcc
	global_load_dword v5, v[6:7], off
.LBB15_2:
	s_or_b64 exec, exec, s[2:3]
	v_lshlrev_b32_e32 v1, 2, v0
	s_waitcnt vmcnt(0)
	ds_write_b32 v1, v5
	s_and_saveexec_b64 s[2:3], s[0:1]
	s_cbranch_execz .LBB15_4
; %bb.3:
	s_load_dwordx2 s[6:7], s[4:5], 0x18
	v_lshlrev_b64 v[4:5], 2, v[2:3]
	s_waitcnt lgkmcnt(0)
	v_mov_b32_e32 v6, s7
	v_add_co_u32_e32 v4, vcc, s6, v4
	v_addc_co_u32_e32 v5, vcc, v6, v5, vcc
	global_load_dword v4, v[4:5], off
.LBB15_4:
	s_or_b64 exec, exec, s[2:3]
	s_load_dwordx2 s[2:3], s[4:5], 0x28
	v_mov_b32_e32 v6, 0
	v_mov_b32_e32 v7, 0
	s_waitcnt vmcnt(0)
	ds_write_b32 v1, v4 offset:1024
	s_and_saveexec_b64 s[6:7], s[0:1]
	s_cbranch_execz .LBB15_6
; %bb.5:
	s_load_dwordx2 s[4:5], s[4:5], 0x20
	v_lshlrev_b64 v[4:5], 2, v[2:3]
	s_waitcnt lgkmcnt(0)
	v_mov_b32_e32 v7, s5
	v_add_co_u32_e32 v4, vcc, s4, v4
	v_addc_co_u32_e32 v5, vcc, v7, v5, vcc
	global_load_dword v7, v[4:5], off
.LBB15_6:
	s_or_b64 exec, exec, s[6:7]
	v_or_b32_e32 v4, 0x400, v1
	v_or_b32_e32 v5, 0x800, v1
	s_waitcnt vmcnt(0)
	ds_write_b32 v1, v7 offset:2048
	s_and_saveexec_b64 s[4:5], s[0:1]
	s_cbranch_execz .LBB15_8
; %bb.7:
	v_lshlrev_b64 v[6:7], 2, v[2:3]
	s_waitcnt lgkmcnt(0)
	v_mov_b32_e32 v8, s3
	v_add_co_u32_e32 v6, vcc, s2, v6
	v_addc_co_u32_e32 v7, vcc, v8, v7, vcc
	global_load_dword v6, v[6:7], off
.LBB15_8:
	s_or_b64 exec, exec, s[4:5]
	s_waitcnt vmcnt(0)
	ds_write_b32 v1, v6 offset:4096
	v_max_u32_e32 v6, 1, v0
	v_lshlrev_b32_e32 v6, 2, v6
	v_add_u32_e32 v8, 0xfc, v6
	s_waitcnt lgkmcnt(0)
	s_barrier
	v_add_u32_e32 v10, -4, v6
	ds_read2st64_b32 v[8:9], v8 offset0:3 offset1:7
	ds_read_b32 v12, v1
	ds_read_b32 v14, v1 offset:4096
	ds_read_b32 v15, v6 offset:4092
	ds_read_b32 v16, v5
	ds_read_b32 v17, v4
	;; [unrolled: 1-line block ×3, first 2 shown]
	s_waitcnt lgkmcnt(5)
	v_div_scale_f32 v13, s[4:5], v8, v8, v12
	v_rcp_f32_e32 v19, v13
	s_add_i32 s6, s8, -1
	v_add_u32_e32 v7, 1, v0
	v_mov_b32_e32 v6, s6
	v_cmp_gt_i32_e32 vcc, s8, v7
	v_cndmask_b32_e32 v7, v6, v7, vcc
	v_fma_f32 v10, -v13, v19, 1.0
	v_lshlrev_b32_e32 v7, 2, v7
	v_fmac_f32_e32 v19, v10, v19
	ds_read2st64_b32 v[10:11], v7 offset1:4
	v_div_scale_f32 v20, vcc, v12, v8, v12
	v_mul_f32_e32 v21, v20, v19
	v_fma_f32 v22, -v13, v21, v20
	v_fmac_f32_e32 v21, v22, v19
	v_fma_f32 v13, -v13, v21, v20
	s_waitcnt lgkmcnt(0)
	v_div_scale_f32 v20, s[4:5], v11, v11, v16
	v_rcp_f32_e32 v22, v20
	v_div_fmas_f32 v13, v13, v19, v21
	v_div_fixup_f32 v8, v13, v8, v12
	v_fma_f32 v9, -v8, v9, v17
	v_fma_f32 v12, -v20, v22, 1.0
	v_fmac_f32_e32 v22, v12, v22
	v_div_scale_f32 v12, vcc, v16, v11, v16
	v_mul_f32_e32 v13, v12, v22
	v_fma_f32 v19, -v20, v13, v12
	v_fmac_f32_e32 v13, v19, v22
	v_fma_f32 v12, -v20, v13, v12
	v_div_fmas_f32 v19, v12, v22, v13
	ds_read2st64_b32 v[12:13], v7 offset0:8 offset1:16
	v_div_fixup_f32 v7, v19, v11, v16
	v_fma_f32 v9, -v7, v10, v9
	v_fma_f32 v10, -v8, v15, v14
	v_mul_f32_e64 v8, v8, -v18
	s_waitcnt lgkmcnt(0)
	v_fma_f32 v10, -v7, v13, v10
	v_mul_f32_e64 v7, v7, -v12
	s_barrier
	ds_write_b32 v4, v9
	ds_write_b32 v1, v10 offset:4096
	ds_write_b32 v1, v8
	ds_write_b32 v5, v7
	v_max_u32_e32 v7, 2, v0
	v_lshlrev_b32_e32 v7, 2, v7
	v_add_u32_e32 v8, 0xf8, v7
	s_waitcnt lgkmcnt(0)
	s_barrier
	v_add_u32_e32 v10, -8, v7
	ds_read2st64_b32 v[8:9], v8 offset0:3 offset1:7
	ds_read_b32 v12, v1
	ds_read_b32 v14, v1 offset:4096
	ds_read_b32 v7, v7 offset:4088
	ds_read_b32 v15, v5
	ds_read_b32 v16, v4
	;; [unrolled: 1-line block ×3, first 2 shown]
	s_waitcnt lgkmcnt(5)
	v_div_scale_f32 v13, s[4:5], v8, v8, v12
	v_rcp_f32_e32 v18, v13
	v_add_u32_e32 v10, 2, v0
	v_cmp_gt_i32_e32 vcc, s8, v10
	v_cndmask_b32_e32 v10, v6, v10, vcc
	v_fma_f32 v11, -v13, v18, 1.0
	v_lshlrev_b32_e32 v21, 2, v10
	v_fmac_f32_e32 v18, v11, v18
	ds_read2st64_b32 v[10:11], v21 offset1:4
	v_div_scale_f32 v19, vcc, v12, v8, v12
	v_mul_f32_e32 v20, v19, v18
	v_fma_f32 v22, -v13, v20, v19
	v_fmac_f32_e32 v20, v22, v18
	v_fma_f32 v13, -v13, v20, v19
	s_waitcnt lgkmcnt(0)
	v_div_scale_f32 v19, s[4:5], v11, v11, v15
	v_rcp_f32_e32 v22, v19
	v_div_fmas_f32 v13, v13, v18, v20
	v_div_fixup_f32 v8, v13, v8, v12
	v_fma_f32 v9, -v8, v9, v16
	v_fma_f32 v12, -v19, v22, 1.0
	v_fmac_f32_e32 v22, v12, v22
	v_div_scale_f32 v12, vcc, v15, v11, v15
	v_mul_f32_e32 v13, v12, v22
	v_fma_f32 v18, -v19, v13, v12
	v_fmac_f32_e32 v13, v18, v22
	v_fma_f32 v12, -v19, v13, v12
	v_div_fmas_f32 v18, v12, v22, v13
	ds_read2st64_b32 v[12:13], v21 offset0:8 offset1:16
	v_div_fixup_f32 v11, v18, v11, v15
	v_fma_f32 v7, -v8, v7, v14
	v_fma_f32 v9, -v11, v10, v9
	v_mul_f32_e64 v8, v8, -v17
	s_waitcnt lgkmcnt(0)
	v_fma_f32 v7, -v11, v13, v7
	v_mul_f32_e64 v10, v11, -v12
	s_barrier
	ds_write_b32 v4, v9
	ds_write_b32 v1, v7 offset:4096
	ds_write_b32 v1, v8
	ds_write_b32 v5, v10
	v_max_u32_e32 v7, 4, v0
	v_lshlrev_b32_e32 v7, 2, v7
	v_add_u32_e32 v8, 0xf0, v7
	s_waitcnt lgkmcnt(0)
	s_barrier
	v_add_u32_e32 v10, -16, v7
	ds_read2st64_b32 v[8:9], v8 offset0:3 offset1:7
	ds_read_b32 v12, v1
	ds_read_b32 v14, v1 offset:4096
	ds_read_b32 v7, v7 offset:4080
	ds_read_b32 v15, v5
	ds_read_b32 v16, v4
	;; [unrolled: 1-line block ×3, first 2 shown]
	s_waitcnt lgkmcnt(5)
	v_div_scale_f32 v13, s[4:5], v8, v8, v12
	v_rcp_f32_e32 v18, v13
	v_add_u32_e32 v10, 4, v0
	v_cmp_gt_i32_e32 vcc, s8, v10
	v_cndmask_b32_e32 v10, v6, v10, vcc
	v_fma_f32 v11, -v13, v18, 1.0
	v_lshlrev_b32_e32 v21, 2, v10
	v_fmac_f32_e32 v18, v11, v18
	ds_read2st64_b32 v[10:11], v21 offset1:4
	v_div_scale_f32 v19, vcc, v12, v8, v12
	v_mul_f32_e32 v20, v19, v18
	v_fma_f32 v22, -v13, v20, v19
	v_fmac_f32_e32 v20, v22, v18
	v_fma_f32 v13, -v13, v20, v19
	s_waitcnt lgkmcnt(0)
	v_div_scale_f32 v19, s[4:5], v11, v11, v15
	v_rcp_f32_e32 v22, v19
	v_div_fmas_f32 v13, v13, v18, v20
	v_div_fixup_f32 v8, v13, v8, v12
	v_fma_f32 v9, -v8, v9, v16
	v_fma_f32 v12, -v19, v22, 1.0
	v_fmac_f32_e32 v22, v12, v22
	v_div_scale_f32 v12, vcc, v15, v11, v15
	v_mul_f32_e32 v13, v12, v22
	v_fma_f32 v18, -v19, v13, v12
	v_fmac_f32_e32 v13, v18, v22
	v_fma_f32 v12, -v19, v13, v12
	v_div_fmas_f32 v18, v12, v22, v13
	ds_read2st64_b32 v[12:13], v21 offset0:8 offset1:16
	v_div_fixup_f32 v11, v18, v11, v15
	v_fma_f32 v7, -v8, v7, v14
	v_fma_f32 v9, -v11, v10, v9
	v_mul_f32_e64 v8, v8, -v17
	s_waitcnt lgkmcnt(0)
	v_fma_f32 v7, -v11, v13, v7
	v_mul_f32_e64 v10, v11, -v12
	s_barrier
	ds_write_b32 v4, v9
	ds_write_b32 v1, v7 offset:4096
	ds_write_b32 v1, v8
	ds_write_b32 v5, v10
	v_max_u32_e32 v7, 8, v0
	v_lshlrev_b32_e32 v7, 2, v7
	v_add_u32_e32 v8, 0xe0, v7
	s_waitcnt lgkmcnt(0)
	s_barrier
	v_subrev_u32_e32 v10, 32, v7
	ds_read2st64_b32 v[8:9], v8 offset0:3 offset1:7
	ds_read_b32 v12, v1
	ds_read_b32 v14, v1 offset:4096
	ds_read_b32 v7, v7 offset:4064
	ds_read_b32 v15, v5
	ds_read_b32 v16, v4
	;; [unrolled: 1-line block ×3, first 2 shown]
	s_waitcnt lgkmcnt(5)
	v_div_scale_f32 v13, s[4:5], v8, v8, v12
	v_rcp_f32_e32 v18, v13
	v_add_u32_e32 v10, 8, v0
	v_cmp_gt_i32_e32 vcc, s8, v10
	v_cndmask_b32_e32 v10, v6, v10, vcc
	v_fma_f32 v11, -v13, v18, 1.0
	v_lshlrev_b32_e32 v21, 2, v10
	v_fmac_f32_e32 v18, v11, v18
	ds_read2st64_b32 v[10:11], v21 offset1:4
	v_div_scale_f32 v19, vcc, v12, v8, v12
	v_mul_f32_e32 v20, v19, v18
	v_fma_f32 v22, -v13, v20, v19
	v_fmac_f32_e32 v20, v22, v18
	v_fma_f32 v13, -v13, v20, v19
	s_waitcnt lgkmcnt(0)
	v_div_scale_f32 v19, s[4:5], v11, v11, v15
	v_rcp_f32_e32 v22, v19
	v_div_fmas_f32 v13, v13, v18, v20
	v_div_fixup_f32 v8, v13, v8, v12
	v_fma_f32 v9, -v8, v9, v16
	v_fma_f32 v12, -v19, v22, 1.0
	v_fmac_f32_e32 v22, v12, v22
	v_div_scale_f32 v12, vcc, v15, v11, v15
	v_mul_f32_e32 v13, v12, v22
	v_fma_f32 v18, -v19, v13, v12
	v_fmac_f32_e32 v13, v18, v22
	v_fma_f32 v12, -v19, v13, v12
	v_div_fmas_f32 v18, v12, v22, v13
	ds_read2st64_b32 v[12:13], v21 offset0:8 offset1:16
	v_div_fixup_f32 v11, v18, v11, v15
	v_fma_f32 v7, -v8, v7, v14
	v_fma_f32 v9, -v11, v10, v9
	v_mul_f32_e64 v8, v8, -v17
	s_waitcnt lgkmcnt(0)
	v_fma_f32 v7, -v11, v13, v7
	v_mul_f32_e64 v10, v11, -v12
	s_barrier
	ds_write_b32 v4, v9
	ds_write_b32 v1, v7 offset:4096
	ds_write_b32 v1, v8
	ds_write_b32 v5, v10
	v_max_u32_e32 v7, 16, v0
	v_lshlrev_b32_e32 v7, 2, v7
	v_add_u32_e32 v8, 0xc0, v7
	s_waitcnt lgkmcnt(0)
	s_barrier
	v_subrev_u32_e32 v10, 64, v7
	ds_read2st64_b32 v[8:9], v8 offset0:3 offset1:7
	ds_read_b32 v12, v1
	ds_read_b32 v14, v1 offset:4096
	ds_read_b32 v7, v7 offset:4032
	ds_read_b32 v15, v5
	ds_read_b32 v16, v4
	;; [unrolled: 1-line block ×3, first 2 shown]
	s_waitcnt lgkmcnt(5)
	v_div_scale_f32 v13, s[4:5], v8, v8, v12
	v_rcp_f32_e32 v18, v13
	v_add_u32_e32 v10, 16, v0
	v_cmp_gt_i32_e32 vcc, s8, v10
	v_cndmask_b32_e32 v10, v6, v10, vcc
	v_fma_f32 v11, -v13, v18, 1.0
	v_lshlrev_b32_e32 v21, 2, v10
	v_fmac_f32_e32 v18, v11, v18
	ds_read2st64_b32 v[10:11], v21 offset1:4
	v_div_scale_f32 v19, vcc, v12, v8, v12
	v_mul_f32_e32 v20, v19, v18
	v_fma_f32 v22, -v13, v20, v19
	v_fmac_f32_e32 v20, v22, v18
	v_fma_f32 v13, -v13, v20, v19
	s_waitcnt lgkmcnt(0)
	v_div_scale_f32 v19, s[4:5], v11, v11, v15
	v_rcp_f32_e32 v22, v19
	v_div_fmas_f32 v13, v13, v18, v20
	v_div_fixup_f32 v8, v13, v8, v12
	v_fma_f32 v9, -v8, v9, v16
	v_fma_f32 v12, -v19, v22, 1.0
	v_fmac_f32_e32 v22, v12, v22
	v_div_scale_f32 v12, vcc, v15, v11, v15
	v_mul_f32_e32 v13, v12, v22
	v_fma_f32 v18, -v19, v13, v12
	v_fmac_f32_e32 v13, v18, v22
	v_fma_f32 v12, -v19, v13, v12
	v_div_fmas_f32 v18, v12, v22, v13
	ds_read2st64_b32 v[12:13], v21 offset0:8 offset1:16
	v_div_fixup_f32 v11, v18, v11, v15
	v_fma_f32 v9, -v11, v10, v9
	v_fma_f32 v7, -v8, v7, v14
	v_mul_f32_e64 v8, v8, -v17
	s_waitcnt lgkmcnt(0)
	v_fma_f32 v7, -v11, v13, v7
	v_mul_f32_e64 v10, v11, -v12
	s_barrier
	ds_write_b32 v4, v9
	ds_write_b32 v1, v7 offset:4096
	ds_write_b32 v1, v8
	ds_write_b32 v5, v10
	v_max_u32_e32 v8, 32, v0
	v_lshlrev_b32_e32 v10, 2, v8
	v_add_u32_e32 v8, 0x80, v10
	s_waitcnt lgkmcnt(0)
	s_barrier
	v_add_u32_e32 v11, 0xffffff80, v10
	ds_read2st64_b32 v[8:9], v8 offset0:3 offset1:7
	ds_read_b32 v12, v1
	ds_read_b32 v14, v1 offset:4096
	ds_read_b32 v15, v10 offset:3968
	ds_read_b32 v16, v5
	ds_read_b32 v17, v4
	;; [unrolled: 1-line block ×3, first 2 shown]
	s_waitcnt lgkmcnt(5)
	v_div_scale_f32 v13, s[4:5], v8, v8, v12
	v_rcp_f32_e32 v19, v13
	v_add_u32_e32 v7, 32, v0
	v_cmp_gt_i32_e32 vcc, s8, v7
	v_cndmask_b32_e32 v7, v6, v7, vcc
	v_fma_f32 v10, -v13, v19, 1.0
	v_lshlrev_b32_e32 v7, 2, v7
	v_fmac_f32_e32 v19, v10, v19
	ds_read2st64_b32 v[10:11], v7 offset1:4
	v_div_scale_f32 v20, vcc, v12, v8, v12
	v_mul_f32_e32 v21, v20, v19
	v_fma_f32 v22, -v13, v21, v20
	v_fmac_f32_e32 v21, v22, v19
	v_fma_f32 v13, -v13, v21, v20
	s_waitcnt lgkmcnt(0)
	v_div_scale_f32 v20, s[4:5], v11, v11, v16
	v_rcp_f32_e32 v22, v20
	v_div_fmas_f32 v13, v13, v19, v21
	v_div_fixup_f32 v8, v13, v8, v12
	v_fma_f32 v9, -v8, v9, v17
	v_fma_f32 v12, -v20, v22, 1.0
	v_fmac_f32_e32 v22, v12, v22
	v_div_scale_f32 v12, vcc, v16, v11, v16
	v_mul_f32_e32 v13, v12, v22
	v_fma_f32 v19, -v20, v13, v12
	v_fmac_f32_e32 v13, v19, v22
	v_fma_f32 v12, -v20, v13, v12
	v_div_fmas_f32 v19, v12, v22, v13
	ds_read2st64_b32 v[12:13], v7 offset0:8 offset1:16
	v_div_fixup_f32 v7, v19, v11, v16
	v_fma_f32 v9, -v7, v10, v9
	v_fma_f32 v10, -v8, v15, v14
	v_mul_f32_e64 v8, v8, -v18
	s_waitcnt lgkmcnt(0)
	v_fma_f32 v10, -v7, v13, v10
	v_mul_f32_e64 v7, v7, -v12
	s_barrier
	ds_write_b32 v4, v9
	ds_write_b32 v1, v10 offset:4096
	ds_write_b32 v1, v8
	ds_write_b32 v5, v7
	v_max_u32_e32 v7, 64, v0
	v_lshlrev_b32_e32 v7, 2, v7
	v_add_u32_e32 v10, 0xffffff00, v7
	s_waitcnt lgkmcnt(0)
	s_barrier
	ds_read2st64_b32 v[8:9], v7 offset0:3 offset1:7
	ds_read_b32 v11, v1
	ds_read_b32 v12, v1 offset:4096
	ds_read_b32 v13, v7 offset:3840
	ds_read_b32 v14, v5
	ds_read_b32 v15, v4
	;; [unrolled: 1-line block ×3, first 2 shown]
	s_waitcnt lgkmcnt(5)
	v_div_scale_f32 v10, s[4:5], v8, v8, v11
	v_rcp_f32_e32 v17, v10
	v_add_u32_e32 v7, 64, v0
	v_cmp_gt_i32_e32 vcc, s8, v7
	v_cndmask_b32_e32 v6, v6, v7, vcc
	v_fma_f32 v7, -v10, v17, 1.0
	v_lshlrev_b32_e32 v20, 2, v6
	v_fmac_f32_e32 v17, v7, v17
	ds_read2st64_b32 v[6:7], v20 offset1:4
	v_div_scale_f32 v18, vcc, v11, v8, v11
	v_mul_f32_e32 v19, v18, v17
	v_fma_f32 v21, -v10, v19, v18
	v_fmac_f32_e32 v19, v21, v17
	v_fma_f32 v10, -v10, v19, v18
	s_waitcnt lgkmcnt(0)
	v_div_scale_f32 v18, s[4:5], v7, v7, v14
	v_rcp_f32_e32 v21, v18
	v_div_fmas_f32 v10, v10, v17, v19
	v_div_fixup_f32 v8, v10, v8, v11
	s_movk_i32 s6, 0x80
	v_fma_f32 v10, -v18, v21, 1.0
	v_fmac_f32_e32 v21, v10, v21
	v_div_scale_f32 v10, vcc, v14, v7, v14
	v_mul_f32_e32 v11, v10, v21
	v_fma_f32 v17, -v18, v11, v10
	v_fmac_f32_e32 v11, v17, v21
	v_fma_f32 v10, -v18, v11, v10
	v_div_fmas_f32 v17, v10, v21, v11
	ds_read2st64_b32 v[10:11], v20 offset0:8 offset1:16
	v_div_fixup_f32 v7, v17, v7, v14
	v_fma_f32 v9, -v8, v9, v15
	v_fma_f32 v6, -v7, v6, v9
	;; [unrolled: 1-line block ×3, first 2 shown]
	v_cmp_gt_u32_e32 vcc, s6, v0
	s_waitcnt lgkmcnt(0)
	v_fma_f32 v9, -v7, v11, v9
	v_mul_f32_e64 v8, v8, -v16
	v_mul_f32_e64 v7, v7, -v10
	s_barrier
	ds_write_b32 v4, v6
	ds_write_b32 v1, v9 offset:4096
	ds_write_b32 v1, v8
	ds_write_b32 v5, v7
	s_waitcnt lgkmcnt(0)
	s_barrier
	s_and_saveexec_b64 s[4:5], vcc
	s_cbranch_execz .LBB15_14
; %bb.9:
	v_or_b32_e32 v6, 0x80, v0
	v_or_b32_e32 v7, 0x1000, v1
	v_cmp_le_i32_e32 vcc, s8, v6
                                        ; implicit-def: $vgpr8
	s_and_saveexec_b64 s[6:7], vcc
	s_xor_b64 s[6:7], exec, s[6:7]
	s_cbranch_execz .LBB15_11
; %bb.10:
	ds_read_b32 v5, v7
	ds_read_b32 v4, v4
	s_waitcnt lgkmcnt(0)
	v_div_scale_f32 v6, s[8:9], v4, v4, v5
	v_rcp_f32_e32 v7, v6
	v_div_scale_f32 v8, vcc, v5, v4, v5
	v_fma_f32 v9, -v6, v7, 1.0
	v_fmac_f32_e32 v7, v9, v7
	v_mul_f32_e32 v9, v8, v7
	v_fma_f32 v10, -v6, v9, v8
	v_fmac_f32_e32 v9, v10, v7
	v_fma_f32 v6, -v6, v9, v8
	v_div_fmas_f32 v6, v6, v7, v9
	v_div_fixup_f32 v8, v6, v4, v5
                                        ; implicit-def: $vgpr4
                                        ; implicit-def: $vgpr5
                                        ; implicit-def: $vgpr7
                                        ; implicit-def: $vgpr6
.LBB15_11:
	s_andn2_saveexec_b64 s[6:7], s[6:7]
	s_cbranch_execz .LBB15_13
; %bb.12:
	ds_read_b32 v0, v5
	ds_read_b32 v10, v1 offset:512
	ds_read2st64_b32 v[4:5], v4 offset1:2
	s_waitcnt lgkmcnt(1)
	v_mul_f32_e32 v8, v0, v10
	s_waitcnt lgkmcnt(0)
	v_fma_f32 v11, v5, v4, -v8
	v_div_scale_f32 v12, s[8:9], v11, v11, 1.0
	v_rcp_f32_e32 v13, v12
	ds_read2st64_b32 v[8:9], v7 offset1:2
	v_div_scale_f32 v7, vcc, 1.0, v11, 1.0
	v_fma_f32 v14, -v12, v13, 1.0
	v_fmac_f32_e32 v13, v14, v13
	v_mul_f32_e32 v14, v7, v13
	v_fma_f32 v15, -v12, v14, v7
	v_fmac_f32_e32 v14, v15, v13
	v_fma_f32 v7, -v12, v14, v7
	v_div_fmas_f32 v7, v7, v13, v14
	s_waitcnt lgkmcnt(0)
	v_mul_f32_e32 v0, v0, v9
	v_div_fixup_f32 v7, v7, v11, 1.0
	v_fma_f32 v0, v5, v8, -v0
	v_mul_f32_e32 v0, v7, v0
	ds_write_b32 v1, v0 offset:3072
	v_mul_f32_e32 v0, v10, v8
	v_fma_f32 v0, v4, v9, -v0
	v_mul_f32_e32 v8, v7, v0
	v_mov_b32_e32 v0, v6
.LBB15_13:
	s_or_b64 exec, exec, s[6:7]
	v_lshlrev_b32_e32 v0, 2, v0
	ds_write_b32 v0, v8 offset:3072
.LBB15_14:
	s_or_b64 exec, exec, s[4:5]
	s_waitcnt lgkmcnt(0)
	s_barrier
	s_and_saveexec_b64 s[4:5], s[0:1]
	s_cbranch_execz .LBB15_16
; %bb.15:
	ds_read_b32 v5, v1 offset:3072
	v_lshlrev_b64 v[2:3], 2, v[2:3]
	v_mov_b32_e32 v4, s3
	v_add_co_u32_e32 v0, vcc, s2, v2
	v_addc_co_u32_e32 v1, vcc, v4, v3, vcc
	s_waitcnt lgkmcnt(0)
	global_store_dword v[0:1], v5, off
.LBB15_16:
	s_endpgm
	.section	.rodata,"a",@progbits
	.p2align	6, 0x0
	.amdhsa_kernel _ZN9rocsparseL44gtsv_nopivot_strided_batch_pcr_shared_kernelILj256EfEEviiiPKT0_S3_S3_PS1_
		.amdhsa_group_segment_fixed_size 5120
		.amdhsa_private_segment_fixed_size 0
		.amdhsa_kernarg_size 48
		.amdhsa_user_sgpr_count 6
		.amdhsa_user_sgpr_private_segment_buffer 1
		.amdhsa_user_sgpr_dispatch_ptr 0
		.amdhsa_user_sgpr_queue_ptr 0
		.amdhsa_user_sgpr_kernarg_segment_ptr 1
		.amdhsa_user_sgpr_dispatch_id 0
		.amdhsa_user_sgpr_flat_scratch_init 0
		.amdhsa_user_sgpr_kernarg_preload_length 0
		.amdhsa_user_sgpr_kernarg_preload_offset 0
		.amdhsa_user_sgpr_private_segment_size 0
		.amdhsa_uses_dynamic_stack 0
		.amdhsa_system_sgpr_private_segment_wavefront_offset 0
		.amdhsa_system_sgpr_workgroup_id_x 1
		.amdhsa_system_sgpr_workgroup_id_y 0
		.amdhsa_system_sgpr_workgroup_id_z 0
		.amdhsa_system_sgpr_workgroup_info 0
		.amdhsa_system_vgpr_workitem_id 0
		.amdhsa_next_free_vgpr 23
		.amdhsa_next_free_sgpr 10
		.amdhsa_accum_offset 24
		.amdhsa_reserve_vcc 1
		.amdhsa_reserve_flat_scratch 0
		.amdhsa_float_round_mode_32 0
		.amdhsa_float_round_mode_16_64 0
		.amdhsa_float_denorm_mode_32 3
		.amdhsa_float_denorm_mode_16_64 3
		.amdhsa_dx10_clamp 1
		.amdhsa_ieee_mode 1
		.amdhsa_fp16_overflow 0
		.amdhsa_tg_split 0
		.amdhsa_exception_fp_ieee_invalid_op 0
		.amdhsa_exception_fp_denorm_src 0
		.amdhsa_exception_fp_ieee_div_zero 0
		.amdhsa_exception_fp_ieee_overflow 0
		.amdhsa_exception_fp_ieee_underflow 0
		.amdhsa_exception_fp_ieee_inexact 0
		.amdhsa_exception_int_div_zero 0
	.end_amdhsa_kernel
	.section	.text._ZN9rocsparseL44gtsv_nopivot_strided_batch_pcr_shared_kernelILj256EfEEviiiPKT0_S3_S3_PS1_,"axG",@progbits,_ZN9rocsparseL44gtsv_nopivot_strided_batch_pcr_shared_kernelILj256EfEEviiiPKT0_S3_S3_PS1_,comdat
.Lfunc_end15:
	.size	_ZN9rocsparseL44gtsv_nopivot_strided_batch_pcr_shared_kernelILj256EfEEviiiPKT0_S3_S3_PS1_, .Lfunc_end15-_ZN9rocsparseL44gtsv_nopivot_strided_batch_pcr_shared_kernelILj256EfEEviiiPKT0_S3_S3_PS1_
                                        ; -- End function
	.section	.AMDGPU.csdata,"",@progbits
; Kernel info:
; codeLenInByte = 3240
; NumSgprs: 14
; NumVgprs: 23
; NumAgprs: 0
; TotalNumVgprs: 23
; ScratchSize: 0
; MemoryBound: 0
; FloatMode: 240
; IeeeMode: 1
; LDSByteSize: 5120 bytes/workgroup (compile time only)
; SGPRBlocks: 1
; VGPRBlocks: 2
; NumSGPRsForWavesPerEU: 14
; NumVGPRsForWavesPerEU: 23
; AccumOffset: 24
; Occupancy: 8
; WaveLimiterHint : 0
; COMPUTE_PGM_RSRC2:SCRATCH_EN: 0
; COMPUTE_PGM_RSRC2:USER_SGPR: 6
; COMPUTE_PGM_RSRC2:TRAP_HANDLER: 0
; COMPUTE_PGM_RSRC2:TGID_X_EN: 1
; COMPUTE_PGM_RSRC2:TGID_Y_EN: 0
; COMPUTE_PGM_RSRC2:TGID_Z_EN: 0
; COMPUTE_PGM_RSRC2:TIDIG_COMP_CNT: 0
; COMPUTE_PGM_RSRC3_GFX90A:ACCUM_OFFSET: 5
; COMPUTE_PGM_RSRC3_GFX90A:TG_SPLIT: 0
	.section	.text._ZN9rocsparseL44gtsv_nopivot_strided_batch_pcr_shared_kernelILj512EfEEviiiPKT0_S3_S3_PS1_,"axG",@progbits,_ZN9rocsparseL44gtsv_nopivot_strided_batch_pcr_shared_kernelILj512EfEEviiiPKT0_S3_S3_PS1_,comdat
	.globl	_ZN9rocsparseL44gtsv_nopivot_strided_batch_pcr_shared_kernelILj512EfEEviiiPKT0_S3_S3_PS1_ ; -- Begin function _ZN9rocsparseL44gtsv_nopivot_strided_batch_pcr_shared_kernelILj512EfEEviiiPKT0_S3_S3_PS1_
	.p2align	8
	.type	_ZN9rocsparseL44gtsv_nopivot_strided_batch_pcr_shared_kernelILj512EfEEviiiPKT0_S3_S3_PS1_,@function
_ZN9rocsparseL44gtsv_nopivot_strided_batch_pcr_shared_kernelILj512EfEEviiiPKT0_S3_S3_PS1_: ; @_ZN9rocsparseL44gtsv_nopivot_strided_batch_pcr_shared_kernelILj512EfEEviiiPKT0_S3_S3_PS1_
; %bb.0:
	s_load_dword s0, s[4:5], 0x8
	s_load_dword s8, s[4:5], 0x0
	v_mov_b32_e32 v4, 0
	v_mov_b32_e32 v5, 0
	s_waitcnt lgkmcnt(0)
	s_mul_i32 s6, s6, s0
	v_add_u32_e32 v2, s6, v0
	v_cmp_gt_i32_e64 s[0:1], s8, v0
	v_ashrrev_i32_e32 v3, 31, v2
	s_and_saveexec_b64 s[2:3], s[0:1]
	s_cbranch_execz .LBB16_2
; %bb.1:
	s_load_dwordx2 s[6:7], s[4:5], 0x10
	v_lshlrev_b64 v[6:7], 2, v[2:3]
	s_waitcnt lgkmcnt(0)
	v_mov_b32_e32 v1, s7
	v_add_co_u32_e32 v6, vcc, s6, v6
	v_addc_co_u32_e32 v7, vcc, v1, v7, vcc
	global_load_dword v5, v[6:7], off
.LBB16_2:
	s_or_b64 exec, exec, s[2:3]
	v_lshlrev_b32_e32 v1, 2, v0
	s_waitcnt vmcnt(0)
	ds_write_b32 v1, v5
	s_and_saveexec_b64 s[2:3], s[0:1]
	s_cbranch_execz .LBB16_4
; %bb.3:
	s_load_dwordx2 s[6:7], s[4:5], 0x18
	v_lshlrev_b64 v[4:5], 2, v[2:3]
	s_waitcnt lgkmcnt(0)
	v_mov_b32_e32 v6, s7
	v_add_co_u32_e32 v4, vcc, s6, v4
	v_addc_co_u32_e32 v5, vcc, v6, v5, vcc
	global_load_dword v4, v[4:5], off
.LBB16_4:
	s_or_b64 exec, exec, s[2:3]
	s_load_dwordx2 s[2:3], s[4:5], 0x28
	v_mov_b32_e32 v6, 0
	v_mov_b32_e32 v7, 0
	s_waitcnt vmcnt(0)
	ds_write_b32 v1, v4 offset:2048
	s_and_saveexec_b64 s[6:7], s[0:1]
	s_cbranch_execz .LBB16_6
; %bb.5:
	s_load_dwordx2 s[4:5], s[4:5], 0x20
	v_lshlrev_b64 v[4:5], 2, v[2:3]
	s_waitcnt lgkmcnt(0)
	v_mov_b32_e32 v7, s5
	v_add_co_u32_e32 v4, vcc, s4, v4
	v_addc_co_u32_e32 v5, vcc, v7, v5, vcc
	global_load_dword v7, v[4:5], off
.LBB16_6:
	s_or_b64 exec, exec, s[6:7]
	v_or_b32_e32 v4, 0x800, v1
	v_or_b32_e32 v5, 0x1000, v1
	s_waitcnt vmcnt(0)
	ds_write_b32 v1, v7 offset:4096
	s_and_saveexec_b64 s[4:5], s[0:1]
	s_cbranch_execz .LBB16_8
; %bb.7:
	v_lshlrev_b64 v[6:7], 2, v[2:3]
	s_waitcnt lgkmcnt(0)
	v_mov_b32_e32 v8, s3
	v_add_co_u32_e32 v6, vcc, s2, v6
	v_addc_co_u32_e32 v7, vcc, v8, v7, vcc
	global_load_dword v6, v[6:7], off
.LBB16_8:
	s_or_b64 exec, exec, s[4:5]
	s_waitcnt vmcnt(0)
	ds_write_b32 v1, v6 offset:8192
	v_max_u32_e32 v6, 1, v0
	v_lshlrev_b32_e32 v6, 2, v6
	v_add_u32_e32 v8, 0xfc, v6
	s_waitcnt lgkmcnt(0)
	s_barrier
	v_add_u32_e32 v10, -4, v6
	ds_read2st64_b32 v[8:9], v8 offset0:7 offset1:15
	ds_read_b32 v12, v1
	ds_read_b32 v14, v1 offset:8192
	ds_read_b32 v15, v6 offset:8188
	ds_read_b32 v16, v5
	ds_read_b32 v17, v4
	;; [unrolled: 1-line block ×3, first 2 shown]
	s_waitcnt lgkmcnt(5)
	v_div_scale_f32 v13, s[4:5], v8, v8, v12
	v_rcp_f32_e32 v19, v13
	s_add_i32 s6, s8, -1
	v_add_u32_e32 v7, 1, v0
	v_mov_b32_e32 v6, s6
	v_cmp_gt_i32_e32 vcc, s8, v7
	v_cndmask_b32_e32 v7, v6, v7, vcc
	v_fma_f32 v10, -v13, v19, 1.0
	v_lshlrev_b32_e32 v7, 2, v7
	v_fmac_f32_e32 v19, v10, v19
	ds_read2st64_b32 v[10:11], v7 offset1:8
	v_div_scale_f32 v20, vcc, v12, v8, v12
	v_mul_f32_e32 v21, v20, v19
	v_fma_f32 v22, -v13, v21, v20
	v_fmac_f32_e32 v21, v22, v19
	v_fma_f32 v13, -v13, v21, v20
	s_waitcnt lgkmcnt(0)
	v_div_scale_f32 v20, s[4:5], v11, v11, v16
	v_rcp_f32_e32 v22, v20
	v_div_fmas_f32 v13, v13, v19, v21
	v_div_fixup_f32 v8, v13, v8, v12
	v_fma_f32 v9, -v8, v9, v17
	v_fma_f32 v12, -v20, v22, 1.0
	v_fmac_f32_e32 v22, v12, v22
	v_div_scale_f32 v12, vcc, v16, v11, v16
	v_mul_f32_e32 v13, v12, v22
	v_fma_f32 v19, -v20, v13, v12
	v_fmac_f32_e32 v13, v19, v22
	v_fma_f32 v12, -v20, v13, v12
	v_div_fmas_f32 v19, v12, v22, v13
	ds_read2st64_b32 v[12:13], v7 offset0:16 offset1:32
	v_div_fixup_f32 v7, v19, v11, v16
	v_fma_f32 v9, -v7, v10, v9
	v_fma_f32 v10, -v8, v15, v14
	v_mul_f32_e64 v8, v8, -v18
	s_waitcnt lgkmcnt(0)
	v_fma_f32 v10, -v7, v13, v10
	v_mul_f32_e64 v7, v7, -v12
	s_barrier
	ds_write_b32 v4, v9
	ds_write_b32 v1, v10 offset:8192
	ds_write_b32 v1, v8
	ds_write_b32 v5, v7
	v_max_u32_e32 v7, 2, v0
	v_lshlrev_b32_e32 v7, 2, v7
	v_add_u32_e32 v8, 0xf8, v7
	s_waitcnt lgkmcnt(0)
	s_barrier
	v_add_u32_e32 v10, -8, v7
	ds_read2st64_b32 v[8:9], v8 offset0:7 offset1:15
	ds_read_b32 v12, v1
	ds_read_b32 v14, v1 offset:8192
	ds_read_b32 v7, v7 offset:8184
	ds_read_b32 v15, v5
	ds_read_b32 v16, v4
	;; [unrolled: 1-line block ×3, first 2 shown]
	s_waitcnt lgkmcnt(5)
	v_div_scale_f32 v13, s[4:5], v8, v8, v12
	v_rcp_f32_e32 v18, v13
	v_add_u32_e32 v10, 2, v0
	v_cmp_gt_i32_e32 vcc, s8, v10
	v_cndmask_b32_e32 v10, v6, v10, vcc
	v_fma_f32 v11, -v13, v18, 1.0
	v_lshlrev_b32_e32 v21, 2, v10
	v_fmac_f32_e32 v18, v11, v18
	ds_read2st64_b32 v[10:11], v21 offset1:8
	v_div_scale_f32 v19, vcc, v12, v8, v12
	v_mul_f32_e32 v20, v19, v18
	v_fma_f32 v22, -v13, v20, v19
	v_fmac_f32_e32 v20, v22, v18
	v_fma_f32 v13, -v13, v20, v19
	s_waitcnt lgkmcnt(0)
	v_div_scale_f32 v19, s[4:5], v11, v11, v15
	v_rcp_f32_e32 v22, v19
	v_div_fmas_f32 v13, v13, v18, v20
	v_div_fixup_f32 v8, v13, v8, v12
	v_fma_f32 v9, -v8, v9, v16
	v_fma_f32 v12, -v19, v22, 1.0
	v_fmac_f32_e32 v22, v12, v22
	v_div_scale_f32 v12, vcc, v15, v11, v15
	v_mul_f32_e32 v13, v12, v22
	v_fma_f32 v18, -v19, v13, v12
	v_fmac_f32_e32 v13, v18, v22
	v_fma_f32 v12, -v19, v13, v12
	v_div_fmas_f32 v18, v12, v22, v13
	ds_read2st64_b32 v[12:13], v21 offset0:16 offset1:32
	v_div_fixup_f32 v11, v18, v11, v15
	v_fma_f32 v7, -v8, v7, v14
	v_fma_f32 v9, -v11, v10, v9
	v_mul_f32_e64 v8, v8, -v17
	s_waitcnt lgkmcnt(0)
	v_fma_f32 v7, -v11, v13, v7
	v_mul_f32_e64 v10, v11, -v12
	s_barrier
	ds_write_b32 v4, v9
	ds_write_b32 v1, v7 offset:8192
	ds_write_b32 v1, v8
	ds_write_b32 v5, v10
	v_max_u32_e32 v7, 4, v0
	v_lshlrev_b32_e32 v7, 2, v7
	v_add_u32_e32 v8, 0xf0, v7
	s_waitcnt lgkmcnt(0)
	s_barrier
	v_add_u32_e32 v10, -16, v7
	ds_read2st64_b32 v[8:9], v8 offset0:7 offset1:15
	ds_read_b32 v12, v1
	ds_read_b32 v14, v1 offset:8192
	ds_read_b32 v7, v7 offset:8176
	ds_read_b32 v15, v5
	ds_read_b32 v16, v4
	;; [unrolled: 1-line block ×3, first 2 shown]
	s_waitcnt lgkmcnt(5)
	v_div_scale_f32 v13, s[4:5], v8, v8, v12
	v_rcp_f32_e32 v18, v13
	v_add_u32_e32 v10, 4, v0
	v_cmp_gt_i32_e32 vcc, s8, v10
	v_cndmask_b32_e32 v10, v6, v10, vcc
	v_fma_f32 v11, -v13, v18, 1.0
	v_lshlrev_b32_e32 v21, 2, v10
	v_fmac_f32_e32 v18, v11, v18
	ds_read2st64_b32 v[10:11], v21 offset1:8
	v_div_scale_f32 v19, vcc, v12, v8, v12
	v_mul_f32_e32 v20, v19, v18
	v_fma_f32 v22, -v13, v20, v19
	v_fmac_f32_e32 v20, v22, v18
	v_fma_f32 v13, -v13, v20, v19
	s_waitcnt lgkmcnt(0)
	v_div_scale_f32 v19, s[4:5], v11, v11, v15
	v_rcp_f32_e32 v22, v19
	v_div_fmas_f32 v13, v13, v18, v20
	v_div_fixup_f32 v8, v13, v8, v12
	v_fma_f32 v9, -v8, v9, v16
	v_fma_f32 v12, -v19, v22, 1.0
	v_fmac_f32_e32 v22, v12, v22
	v_div_scale_f32 v12, vcc, v15, v11, v15
	v_mul_f32_e32 v13, v12, v22
	v_fma_f32 v18, -v19, v13, v12
	v_fmac_f32_e32 v13, v18, v22
	v_fma_f32 v12, -v19, v13, v12
	v_div_fmas_f32 v18, v12, v22, v13
	ds_read2st64_b32 v[12:13], v21 offset0:16 offset1:32
	v_div_fixup_f32 v11, v18, v11, v15
	v_fma_f32 v7, -v8, v7, v14
	v_fma_f32 v9, -v11, v10, v9
	v_mul_f32_e64 v8, v8, -v17
	s_waitcnt lgkmcnt(0)
	v_fma_f32 v7, -v11, v13, v7
	v_mul_f32_e64 v10, v11, -v12
	s_barrier
	ds_write_b32 v4, v9
	ds_write_b32 v1, v7 offset:8192
	ds_write_b32 v1, v8
	ds_write_b32 v5, v10
	v_max_u32_e32 v7, 8, v0
	v_lshlrev_b32_e32 v7, 2, v7
	v_add_u32_e32 v8, 0xe0, v7
	s_waitcnt lgkmcnt(0)
	s_barrier
	v_subrev_u32_e32 v10, 32, v7
	ds_read2st64_b32 v[8:9], v8 offset0:7 offset1:15
	ds_read_b32 v12, v1
	ds_read_b32 v14, v1 offset:8192
	ds_read_b32 v7, v7 offset:8160
	ds_read_b32 v15, v5
	ds_read_b32 v16, v4
	;; [unrolled: 1-line block ×3, first 2 shown]
	s_waitcnt lgkmcnt(5)
	v_div_scale_f32 v13, s[4:5], v8, v8, v12
	v_rcp_f32_e32 v18, v13
	v_add_u32_e32 v10, 8, v0
	v_cmp_gt_i32_e32 vcc, s8, v10
	v_cndmask_b32_e32 v10, v6, v10, vcc
	v_fma_f32 v11, -v13, v18, 1.0
	v_lshlrev_b32_e32 v21, 2, v10
	v_fmac_f32_e32 v18, v11, v18
	ds_read2st64_b32 v[10:11], v21 offset1:8
	v_div_scale_f32 v19, vcc, v12, v8, v12
	v_mul_f32_e32 v20, v19, v18
	v_fma_f32 v22, -v13, v20, v19
	v_fmac_f32_e32 v20, v22, v18
	v_fma_f32 v13, -v13, v20, v19
	s_waitcnt lgkmcnt(0)
	v_div_scale_f32 v19, s[4:5], v11, v11, v15
	v_rcp_f32_e32 v22, v19
	v_div_fmas_f32 v13, v13, v18, v20
	v_div_fixup_f32 v8, v13, v8, v12
	v_fma_f32 v9, -v8, v9, v16
	v_fma_f32 v12, -v19, v22, 1.0
	v_fmac_f32_e32 v22, v12, v22
	v_div_scale_f32 v12, vcc, v15, v11, v15
	v_mul_f32_e32 v13, v12, v22
	v_fma_f32 v18, -v19, v13, v12
	v_fmac_f32_e32 v13, v18, v22
	v_fma_f32 v12, -v19, v13, v12
	v_div_fmas_f32 v18, v12, v22, v13
	ds_read2st64_b32 v[12:13], v21 offset0:16 offset1:32
	v_div_fixup_f32 v11, v18, v11, v15
	v_fma_f32 v7, -v8, v7, v14
	v_fma_f32 v9, -v11, v10, v9
	v_mul_f32_e64 v8, v8, -v17
	s_waitcnt lgkmcnt(0)
	v_fma_f32 v7, -v11, v13, v7
	v_mul_f32_e64 v10, v11, -v12
	s_barrier
	ds_write_b32 v4, v9
	ds_write_b32 v1, v7 offset:8192
	ds_write_b32 v1, v8
	ds_write_b32 v5, v10
	v_max_u32_e32 v7, 16, v0
	v_lshlrev_b32_e32 v7, 2, v7
	v_add_u32_e32 v8, 0xc0, v7
	s_waitcnt lgkmcnt(0)
	s_barrier
	v_subrev_u32_e32 v10, 64, v7
	ds_read2st64_b32 v[8:9], v8 offset0:7 offset1:15
	ds_read_b32 v12, v1
	ds_read_b32 v14, v1 offset:8192
	ds_read_b32 v7, v7 offset:8128
	ds_read_b32 v15, v5
	ds_read_b32 v16, v4
	ds_read_b32 v17, v10
	s_waitcnt lgkmcnt(5)
	v_div_scale_f32 v13, s[4:5], v8, v8, v12
	v_rcp_f32_e32 v18, v13
	v_add_u32_e32 v10, 16, v0
	v_cmp_gt_i32_e32 vcc, s8, v10
	v_cndmask_b32_e32 v10, v6, v10, vcc
	v_fma_f32 v11, -v13, v18, 1.0
	v_lshlrev_b32_e32 v21, 2, v10
	v_fmac_f32_e32 v18, v11, v18
	ds_read2st64_b32 v[10:11], v21 offset1:8
	v_div_scale_f32 v19, vcc, v12, v8, v12
	v_mul_f32_e32 v20, v19, v18
	v_fma_f32 v22, -v13, v20, v19
	v_fmac_f32_e32 v20, v22, v18
	v_fma_f32 v13, -v13, v20, v19
	s_waitcnt lgkmcnt(0)
	v_div_scale_f32 v19, s[4:5], v11, v11, v15
	v_rcp_f32_e32 v22, v19
	v_div_fmas_f32 v13, v13, v18, v20
	v_div_fixup_f32 v8, v13, v8, v12
	v_fma_f32 v9, -v8, v9, v16
	v_fma_f32 v12, -v19, v22, 1.0
	v_fmac_f32_e32 v22, v12, v22
	v_div_scale_f32 v12, vcc, v15, v11, v15
	v_mul_f32_e32 v13, v12, v22
	v_fma_f32 v18, -v19, v13, v12
	v_fmac_f32_e32 v13, v18, v22
	v_fma_f32 v12, -v19, v13, v12
	v_div_fmas_f32 v18, v12, v22, v13
	ds_read2st64_b32 v[12:13], v21 offset0:16 offset1:32
	v_div_fixup_f32 v11, v18, v11, v15
	v_fma_f32 v7, -v8, v7, v14
	v_fma_f32 v9, -v11, v10, v9
	v_mul_f32_e64 v8, v8, -v17
	s_waitcnt lgkmcnt(0)
	v_fma_f32 v7, -v11, v13, v7
	v_mul_f32_e64 v10, v11, -v12
	s_barrier
	ds_write_b32 v4, v9
	ds_write_b32 v1, v7 offset:8192
	ds_write_b32 v1, v8
	ds_write_b32 v5, v10
	v_max_u32_e32 v7, 32, v0
	v_lshlrev_b32_e32 v7, 2, v7
	v_add_u32_e32 v8, 0x80, v7
	s_waitcnt lgkmcnt(0)
	s_barrier
	v_add_u32_e32 v10, 0xffffff80, v7
	ds_read2st64_b32 v[8:9], v8 offset0:7 offset1:15
	ds_read_b32 v12, v1
	ds_read_b32 v14, v1 offset:8192
	ds_read_b32 v7, v7 offset:8064
	ds_read_b32 v15, v5
	ds_read_b32 v16, v4
	;; [unrolled: 1-line block ×3, first 2 shown]
	s_waitcnt lgkmcnt(5)
	v_div_scale_f32 v13, s[4:5], v8, v8, v12
	v_rcp_f32_e32 v18, v13
	v_add_u32_e32 v10, 32, v0
	v_cmp_gt_i32_e32 vcc, s8, v10
	v_cndmask_b32_e32 v10, v6, v10, vcc
	v_fma_f32 v11, -v13, v18, 1.0
	v_lshlrev_b32_e32 v21, 2, v10
	v_fmac_f32_e32 v18, v11, v18
	ds_read2st64_b32 v[10:11], v21 offset1:8
	v_div_scale_f32 v19, vcc, v12, v8, v12
	v_mul_f32_e32 v20, v19, v18
	v_fma_f32 v22, -v13, v20, v19
	v_fmac_f32_e32 v20, v22, v18
	v_fma_f32 v13, -v13, v20, v19
	s_waitcnt lgkmcnt(0)
	v_div_scale_f32 v19, s[4:5], v11, v11, v15
	v_rcp_f32_e32 v22, v19
	v_div_fmas_f32 v13, v13, v18, v20
	v_div_fixup_f32 v8, v13, v8, v12
	v_fma_f32 v9, -v8, v9, v16
	v_fma_f32 v12, -v19, v22, 1.0
	v_fmac_f32_e32 v22, v12, v22
	v_div_scale_f32 v12, vcc, v15, v11, v15
	v_mul_f32_e32 v13, v12, v22
	v_fma_f32 v18, -v19, v13, v12
	v_fmac_f32_e32 v13, v18, v22
	v_fma_f32 v12, -v19, v13, v12
	v_div_fmas_f32 v18, v12, v22, v13
	ds_read2st64_b32 v[12:13], v21 offset0:16 offset1:32
	v_div_fixup_f32 v11, v18, v11, v15
	v_fma_f32 v7, -v8, v7, v14
	v_fma_f32 v9, -v11, v10, v9
	v_mul_f32_e64 v8, v8, -v17
	s_waitcnt lgkmcnt(0)
	v_fma_f32 v7, -v11, v13, v7
	v_mul_f32_e64 v10, v11, -v12
	s_barrier
	ds_write_b32 v4, v9
	ds_write_b32 v1, v7 offset:8192
	ds_write_b32 v1, v8
	ds_write_b32 v5, v10
	v_max_u32_e32 v7, 64, v0
	v_lshlrev_b32_e32 v7, 2, v7
	s_waitcnt lgkmcnt(0)
	s_barrier
	v_add_u32_e32 v10, 0xffffff00, v7
	ds_read2st64_b32 v[8:9], v7 offset0:7 offset1:15
	ds_read_b32 v12, v1
	ds_read_b32 v14, v1 offset:8192
	ds_read_b32 v7, v7 offset:7936
	ds_read_b32 v15, v5
	ds_read_b32 v16, v4
	;; [unrolled: 1-line block ×3, first 2 shown]
	s_waitcnt lgkmcnt(5)
	v_div_scale_f32 v13, s[4:5], v8, v8, v12
	v_rcp_f32_e32 v18, v13
	v_add_u32_e32 v10, 64, v0
	v_cmp_gt_i32_e32 vcc, s8, v10
	v_cndmask_b32_e32 v10, v6, v10, vcc
	v_fma_f32 v11, -v13, v18, 1.0
	v_lshlrev_b32_e32 v21, 2, v10
	v_fmac_f32_e32 v18, v11, v18
	ds_read2st64_b32 v[10:11], v21 offset1:8
	v_div_scale_f32 v19, vcc, v12, v8, v12
	v_mul_f32_e32 v20, v19, v18
	v_fma_f32 v22, -v13, v20, v19
	v_fmac_f32_e32 v20, v22, v18
	v_fma_f32 v13, -v13, v20, v19
	s_waitcnt lgkmcnt(0)
	v_div_scale_f32 v19, s[4:5], v11, v11, v15
	v_rcp_f32_e32 v22, v19
	v_div_fmas_f32 v13, v13, v18, v20
	v_div_fixup_f32 v8, v13, v8, v12
	v_fma_f32 v9, -v8, v9, v16
	v_fma_f32 v12, -v19, v22, 1.0
	v_fmac_f32_e32 v22, v12, v22
	v_div_scale_f32 v12, vcc, v15, v11, v15
	v_mul_f32_e32 v13, v12, v22
	v_fma_f32 v18, -v19, v13, v12
	v_fmac_f32_e32 v13, v18, v22
	v_fma_f32 v12, -v19, v13, v12
	v_div_fmas_f32 v18, v12, v22, v13
	ds_read2st64_b32 v[12:13], v21 offset0:16 offset1:32
	v_div_fixup_f32 v11, v18, v11, v15
	v_fma_f32 v7, -v8, v7, v14
	v_fma_f32 v9, -v11, v10, v9
	v_mul_f32_e64 v8, v8, -v17
	s_waitcnt lgkmcnt(0)
	v_fma_f32 v7, -v11, v13, v7
	v_mul_f32_e64 v10, v11, -v12
	s_barrier
	ds_write_b32 v4, v9
	ds_write_b32 v1, v7 offset:8192
	ds_write_b32 v1, v8
	ds_write_b32 v5, v10
	v_max_u32_e32 v7, 0x80, v0
	v_lshlrev_b32_e32 v7, 2, v7
	v_add_u32_e32 v10, 0xfffffe00, v7
	s_waitcnt lgkmcnt(0)
	s_barrier
	ds_read2st64_b32 v[8:9], v7 offset0:6 offset1:14
	ds_read_b32 v11, v1
	ds_read_b32 v12, v1 offset:8192
	ds_read_b32 v13, v7 offset:7680
	ds_read_b32 v14, v5
	ds_read_b32 v15, v4
	;; [unrolled: 1-line block ×3, first 2 shown]
	s_waitcnt lgkmcnt(5)
	v_div_scale_f32 v10, s[4:5], v8, v8, v11
	v_rcp_f32_e32 v17, v10
	v_add_u32_e32 v7, 0x80, v0
	v_cmp_gt_i32_e32 vcc, s8, v7
	v_cndmask_b32_e32 v6, v6, v7, vcc
	v_fma_f32 v7, -v10, v17, 1.0
	v_lshlrev_b32_e32 v20, 2, v6
	v_fmac_f32_e32 v17, v7, v17
	ds_read2st64_b32 v[6:7], v20 offset1:8
	v_div_scale_f32 v18, vcc, v11, v8, v11
	v_mul_f32_e32 v19, v18, v17
	v_fma_f32 v21, -v10, v19, v18
	v_fmac_f32_e32 v19, v21, v17
	v_fma_f32 v10, -v10, v19, v18
	s_waitcnt lgkmcnt(0)
	v_div_scale_f32 v18, s[4:5], v7, v7, v14
	v_rcp_f32_e32 v21, v18
	v_div_fmas_f32 v10, v10, v17, v19
	v_div_fixup_f32 v8, v10, v8, v11
	v_fma_f32 v9, -v8, v9, v15
	v_fma_f32 v10, -v18, v21, 1.0
	v_fmac_f32_e32 v21, v10, v21
	v_div_scale_f32 v10, vcc, v14, v7, v14
	v_mul_f32_e32 v11, v10, v21
	v_fma_f32 v17, -v18, v11, v10
	v_fmac_f32_e32 v11, v17, v21
	v_fma_f32 v10, -v18, v11, v10
	v_div_fmas_f32 v17, v10, v21, v11
	ds_read2st64_b32 v[10:11], v20 offset0:16 offset1:32
	v_div_fixup_f32 v7, v17, v7, v14
	s_movk_i32 s4, 0x100
	v_fma_f32 v6, -v7, v6, v9
	v_fma_f32 v9, -v8, v13, v12
	v_cmp_gt_u32_e32 vcc, s4, v0
	s_waitcnt lgkmcnt(0)
	v_fma_f32 v9, -v7, v11, v9
	v_mul_f32_e64 v8, v8, -v16
	v_mul_f32_e64 v7, v7, -v10
	s_barrier
	ds_write_b32 v4, v6
	ds_write_b32 v1, v9 offset:8192
	ds_write_b32 v1, v8
	ds_write_b32 v5, v7
	s_waitcnt lgkmcnt(0)
	s_barrier
	s_and_saveexec_b64 s[4:5], vcc
	s_cbranch_execz .LBB16_14
; %bb.9:
	v_or_b32_e32 v6, 0x100, v0
	v_or_b32_e32 v7, 0x2000, v1
	v_cmp_le_i32_e32 vcc, s8, v6
                                        ; implicit-def: $vgpr8
	s_and_saveexec_b64 s[6:7], vcc
	s_xor_b64 s[6:7], exec, s[6:7]
	s_cbranch_execz .LBB16_11
; %bb.10:
	ds_read_b32 v5, v7
	ds_read_b32 v4, v4
	s_waitcnt lgkmcnt(0)
	v_div_scale_f32 v6, s[8:9], v4, v4, v5
	v_rcp_f32_e32 v7, v6
	v_div_scale_f32 v8, vcc, v5, v4, v5
	v_fma_f32 v9, -v6, v7, 1.0
	v_fmac_f32_e32 v7, v9, v7
	v_mul_f32_e32 v9, v8, v7
	v_fma_f32 v10, -v6, v9, v8
	v_fmac_f32_e32 v9, v10, v7
	v_fma_f32 v6, -v6, v9, v8
	v_div_fmas_f32 v6, v6, v7, v9
	v_div_fixup_f32 v8, v6, v4, v5
                                        ; implicit-def: $vgpr4
                                        ; implicit-def: $vgpr5
                                        ; implicit-def: $vgpr7
                                        ; implicit-def: $vgpr6
.LBB16_11:
	s_andn2_saveexec_b64 s[6:7], s[6:7]
	s_cbranch_execz .LBB16_13
; %bb.12:
	ds_read_b32 v0, v5
	ds_read_b32 v10, v1 offset:1024
	ds_read2st64_b32 v[4:5], v4 offset1:4
	s_waitcnt lgkmcnt(1)
	v_mul_f32_e32 v8, v0, v10
	s_waitcnt lgkmcnt(0)
	v_fma_f32 v11, v5, v4, -v8
	v_div_scale_f32 v12, s[8:9], v11, v11, 1.0
	v_rcp_f32_e32 v13, v12
	ds_read2st64_b32 v[8:9], v7 offset1:4
	v_div_scale_f32 v7, vcc, 1.0, v11, 1.0
	v_fma_f32 v14, -v12, v13, 1.0
	v_fmac_f32_e32 v13, v14, v13
	v_mul_f32_e32 v14, v7, v13
	v_fma_f32 v15, -v12, v14, v7
	v_fmac_f32_e32 v14, v15, v13
	v_fma_f32 v7, -v12, v14, v7
	v_div_fmas_f32 v7, v7, v13, v14
	s_waitcnt lgkmcnt(0)
	v_mul_f32_e32 v0, v0, v9
	v_div_fixup_f32 v7, v7, v11, 1.0
	v_fma_f32 v0, v5, v8, -v0
	v_mul_f32_e32 v0, v7, v0
	ds_write_b32 v1, v0 offset:6144
	v_mul_f32_e32 v0, v10, v8
	v_fma_f32 v0, v4, v9, -v0
	v_mul_f32_e32 v8, v7, v0
	v_mov_b32_e32 v0, v6
.LBB16_13:
	s_or_b64 exec, exec, s[6:7]
	v_lshlrev_b32_e32 v0, 2, v0
	ds_write_b32 v0, v8 offset:6144
.LBB16_14:
	s_or_b64 exec, exec, s[4:5]
	s_waitcnt lgkmcnt(0)
	s_barrier
	s_and_saveexec_b64 s[4:5], s[0:1]
	s_cbranch_execz .LBB16_16
; %bb.15:
	ds_read_b32 v5, v1 offset:6144
	v_lshlrev_b64 v[2:3], 2, v[2:3]
	v_mov_b32_e32 v4, s3
	v_add_co_u32_e32 v0, vcc, s2, v2
	v_addc_co_u32_e32 v1, vcc, v4, v3, vcc
	s_waitcnt lgkmcnt(0)
	global_store_dword v[0:1], v5, off
.LBB16_16:
	s_endpgm
	.section	.rodata,"a",@progbits
	.p2align	6, 0x0
	.amdhsa_kernel _ZN9rocsparseL44gtsv_nopivot_strided_batch_pcr_shared_kernelILj512EfEEviiiPKT0_S3_S3_PS1_
		.amdhsa_group_segment_fixed_size 10240
		.amdhsa_private_segment_fixed_size 0
		.amdhsa_kernarg_size 48
		.amdhsa_user_sgpr_count 6
		.amdhsa_user_sgpr_private_segment_buffer 1
		.amdhsa_user_sgpr_dispatch_ptr 0
		.amdhsa_user_sgpr_queue_ptr 0
		.amdhsa_user_sgpr_kernarg_segment_ptr 1
		.amdhsa_user_sgpr_dispatch_id 0
		.amdhsa_user_sgpr_flat_scratch_init 0
		.amdhsa_user_sgpr_kernarg_preload_length 0
		.amdhsa_user_sgpr_kernarg_preload_offset 0
		.amdhsa_user_sgpr_private_segment_size 0
		.amdhsa_uses_dynamic_stack 0
		.amdhsa_system_sgpr_private_segment_wavefront_offset 0
		.amdhsa_system_sgpr_workgroup_id_x 1
		.amdhsa_system_sgpr_workgroup_id_y 0
		.amdhsa_system_sgpr_workgroup_id_z 0
		.amdhsa_system_sgpr_workgroup_info 0
		.amdhsa_system_vgpr_workitem_id 0
		.amdhsa_next_free_vgpr 23
		.amdhsa_next_free_sgpr 10
		.amdhsa_accum_offset 24
		.amdhsa_reserve_vcc 1
		.amdhsa_reserve_flat_scratch 0
		.amdhsa_float_round_mode_32 0
		.amdhsa_float_round_mode_16_64 0
		.amdhsa_float_denorm_mode_32 3
		.amdhsa_float_denorm_mode_16_64 3
		.amdhsa_dx10_clamp 1
		.amdhsa_ieee_mode 1
		.amdhsa_fp16_overflow 0
		.amdhsa_tg_split 0
		.amdhsa_exception_fp_ieee_invalid_op 0
		.amdhsa_exception_fp_denorm_src 0
		.amdhsa_exception_fp_ieee_div_zero 0
		.amdhsa_exception_fp_ieee_overflow 0
		.amdhsa_exception_fp_ieee_underflow 0
		.amdhsa_exception_fp_ieee_inexact 0
		.amdhsa_exception_int_div_zero 0
	.end_amdhsa_kernel
	.section	.text._ZN9rocsparseL44gtsv_nopivot_strided_batch_pcr_shared_kernelILj512EfEEviiiPKT0_S3_S3_PS1_,"axG",@progbits,_ZN9rocsparseL44gtsv_nopivot_strided_batch_pcr_shared_kernelILj512EfEEviiiPKT0_S3_S3_PS1_,comdat
.Lfunc_end16:
	.size	_ZN9rocsparseL44gtsv_nopivot_strided_batch_pcr_shared_kernelILj512EfEEviiiPKT0_S3_S3_PS1_, .Lfunc_end16-_ZN9rocsparseL44gtsv_nopivot_strided_batch_pcr_shared_kernelILj512EfEEviiiPKT0_S3_S3_PS1_
                                        ; -- End function
	.section	.AMDGPU.csdata,"",@progbits
; Kernel info:
; codeLenInByte = 3600
; NumSgprs: 14
; NumVgprs: 23
; NumAgprs: 0
; TotalNumVgprs: 23
; ScratchSize: 0
; MemoryBound: 0
; FloatMode: 240
; IeeeMode: 1
; LDSByteSize: 10240 bytes/workgroup (compile time only)
; SGPRBlocks: 1
; VGPRBlocks: 2
; NumSGPRsForWavesPerEU: 14
; NumVGPRsForWavesPerEU: 23
; AccumOffset: 24
; Occupancy: 8
; WaveLimiterHint : 0
; COMPUTE_PGM_RSRC2:SCRATCH_EN: 0
; COMPUTE_PGM_RSRC2:USER_SGPR: 6
; COMPUTE_PGM_RSRC2:TRAP_HANDLER: 0
; COMPUTE_PGM_RSRC2:TGID_X_EN: 1
; COMPUTE_PGM_RSRC2:TGID_Y_EN: 0
; COMPUTE_PGM_RSRC2:TGID_Z_EN: 0
; COMPUTE_PGM_RSRC2:TIDIG_COMP_CNT: 0
; COMPUTE_PGM_RSRC3_GFX90A:ACCUM_OFFSET: 5
; COMPUTE_PGM_RSRC3_GFX90A:TG_SPLIT: 0
	.section	.text._ZN9rocsparseL49gtsv_nopivot_strided_batch_pcr_pow2_stage1_kernelILj256EfEEviiiiPKT0_S3_S3_S3_PS1_S4_S4_S4_,"axG",@progbits,_ZN9rocsparseL49gtsv_nopivot_strided_batch_pcr_pow2_stage1_kernelILj256EfEEviiiiPKT0_S3_S3_S3_PS1_S4_S4_S4_,comdat
	.globl	_ZN9rocsparseL49gtsv_nopivot_strided_batch_pcr_pow2_stage1_kernelILj256EfEEviiiiPKT0_S3_S3_S3_PS1_S4_S4_S4_ ; -- Begin function _ZN9rocsparseL49gtsv_nopivot_strided_batch_pcr_pow2_stage1_kernelILj256EfEEviiiiPKT0_S3_S3_S3_PS1_S4_S4_S4_
	.p2align	8
	.type	_ZN9rocsparseL49gtsv_nopivot_strided_batch_pcr_pow2_stage1_kernelILj256EfEEviiiiPKT0_S3_S3_S3_PS1_S4_S4_S4_,@function
_ZN9rocsparseL49gtsv_nopivot_strided_batch_pcr_pow2_stage1_kernelILj256EfEEviiiiPKT0_S3_S3_S3_PS1_S4_S4_S4_: ; @_ZN9rocsparseL49gtsv_nopivot_strided_batch_pcr_pow2_stage1_kernelILj256EfEEviiiiPKT0_S3_S3_S3_PS1_S4_S4_S4_
; %bb.0:
	s_load_dwordx2 s[24:25], s[4:5], 0x0
	s_load_dwordx8 s[8:15], s[4:5], 0x30
	s_load_dword s26, s[4:5], 0xc
	s_load_dwordx8 s[16:23], s[4:5], 0x10
	v_lshl_or_b32 v0, s6, 8, v0
	s_waitcnt lgkmcnt(0)
	s_add_i32 s0, s25, -1
	v_mov_b32_e32 v2, s0
	s_mul_i32 s0, s7, s25
	s_ashr_i32 s1, s0, 31
	s_lshl_b64 s[4:5], s[0:1], 2
	s_add_u32 s2, s14, s4
	s_mul_i32 s0, s7, s26
	s_addc_u32 s3, s15, s5
	s_ashr_i32 s1, s0, 31
	s_lshl_b64 s[6:7], s[0:1], 2
	s_add_u32 s14, s22, s6
	s_addc_u32 s15, s23, s7
	s_add_u32 s0, s12, s4
	s_addc_u32 s1, s13, s5
	;; [unrolled: 2-line block ×4, first 2 shown]
	s_add_u32 s18, s18, s6
	v_add_u32_e32 v1, s24, v0
	s_addc_u32 s19, s19, s7
	v_cmp_gt_i32_e32 vcc, s25, v1
	s_add_u32 s8, s8, s4
	v_cndmask_b32_e32 v2, v2, v1, vcc
	s_addc_u32 s9, s9, s5
	v_subrev_u32_e32 v1, s24, v0
	s_add_u32 s4, s16, s6
	v_max_i32_e32 v4, 0, v1
	v_ashrrev_i32_e32 v1, 31, v0
	s_addc_u32 s5, s17, s7
	v_lshlrev_b64 v[0:1], 2, v[0:1]
	v_mov_b32_e32 v3, s5
	v_add_co_u32_e32 v6, vcc, s4, v0
	v_mov_b32_e32 v5, 0
	v_addc_co_u32_e32 v7, vcc, v3, v1, vcc
	v_lshlrev_b64 v[4:5], 2, v[4:5]
	global_load_dword v12, v[6:7], off
	v_mov_b32_e32 v3, s19
	v_add_co_u32_e32 v6, vcc, s18, v4
	v_addc_co_u32_e32 v7, vcc, v3, v5, vcc
	global_load_dword v13, v[6:7], off
	v_mov_b32_e32 v3, s13
	v_add_co_u32_e32 v6, vcc, s12, v0
	v_addc_co_u32_e32 v7, vcc, v3, v1, vcc
	v_ashrrev_i32_e32 v3, 31, v2
	v_lshlrev_b64 v[2:3], 2, v[2:3]
	global_load_dword v14, v[6:7], off
	v_mov_b32_e32 v7, s19
	v_add_co_u32_e32 v6, vcc, s18, v2
	v_addc_co_u32_e32 v7, vcc, v7, v3, vcc
	global_load_dword v15, v[6:7], off
	v_mov_b32_e32 v7, s15
	v_add_co_u32_e32 v6, vcc, s14, v2
	v_addc_co_u32_e32 v7, vcc, v7, v3, vcc
	v_mov_b32_e32 v9, s15
	v_add_co_u32_e32 v8, vcc, s14, v4
	v_addc_co_u32_e32 v9, vcc, v9, v5, vcc
	;; [unrolled: 3-line block ×3, first 2 shown]
	global_load_dword v16, v[10:11], off
	v_mov_b32_e32 v11, s13
	v_add_co_u32_e32 v10, vcc, s12, v4
	v_addc_co_u32_e32 v11, vcc, v11, v5, vcc
	global_load_dword v17, v[10:11], off
	v_mov_b32_e32 v11, s5
	v_add_co_u32_e32 v10, vcc, s4, v2
	v_addc_co_u32_e32 v11, vcc, v11, v3, vcc
	global_load_dword v18, v[10:11], off
	global_load_dword v19, v[8:9], off
	v_mov_b32_e32 v9, s15
	v_add_co_u32_e32 v8, vcc, s14, v0
	v_addc_co_u32_e32 v9, vcc, v9, v1, vcc
	global_load_dword v10, v[8:9], off
	;; [unrolled: 5-line block ×3, first 2 shown]
	v_mov_b32_e32 v5, s13
	v_add_co_u32_e32 v2, vcc, s12, v2
	v_addc_co_u32_e32 v3, vcc, v5, v3, vcc
	global_load_dword v5, v[2:3], off
	s_waitcnt vmcnt(10)
	v_div_scale_f32 v2, s[4:5], v13, v13, v12
	v_rcp_f32_e32 v3, v2
	v_fma_f32 v6, -v2, v3, 1.0
	v_fmac_f32_e32 v3, v6, v3
	v_div_scale_f32 v6, vcc, v12, v13, v12
	v_mul_f32_e32 v7, v6, v3
	v_fma_f32 v8, -v2, v7, v6
	v_fmac_f32_e32 v7, v8, v3
	v_fma_f32 v2, -v2, v7, v6
	s_waitcnt vmcnt(8)
	v_div_scale_f32 v6, s[4:5], v15, v15, v14
	v_rcp_f32_e32 v8, v6
	v_div_fmas_f32 v2, v2, v3, v7
	v_div_fixup_f32 v7, v2, v13, v12
	v_fma_f32 v2, -v6, v8, 1.0
	v_fmac_f32_e32 v8, v2, v8
	v_div_scale_f32 v2, vcc, v14, v15, v14
	v_mul_f32_e32 v3, v2, v8
	v_fma_f32 v9, -v6, v3, v2
	v_fmac_f32_e32 v3, v9, v8
	v_fma_f32 v2, -v6, v3, v2
	v_div_fmas_f32 v2, v2, v8, v3
	v_div_fixup_f32 v6, v2, v15, v14
	v_mov_b32_e32 v3, s11
	s_waitcnt vmcnt(6)
	v_fma_f32 v2, -v7, v17, v16
	s_waitcnt vmcnt(5)
	v_fma_f32 v8, -v6, v18, v2
	v_add_co_u32_e32 v2, vcc, s10, v0
	v_addc_co_u32_e32 v3, vcc, v3, v1, vcc
	global_store_dword v[2:3], v8, off
	s_waitcnt vmcnt(4)
	v_fma_f32 v2, -v7, v19, v10
	s_waitcnt vmcnt(3)
	v_fma_f32 v8, -v11, v6, v2
	v_mov_b32_e32 v3, s3
	v_add_co_u32_e32 v2, vcc, s2, v0
	v_addc_co_u32_e32 v3, vcc, v3, v1, vcc
	global_store_dword v[2:3], v8, off
	v_mov_b32_e32 v3, s9
	v_add_co_u32_e32 v2, vcc, s8, v0
	s_waitcnt vmcnt(3)
	v_mul_f32_e64 v4, v7, -v4
	v_addc_co_u32_e32 v3, vcc, v3, v1, vcc
	global_store_dword v[2:3], v4, off
	v_mov_b32_e32 v3, s1
	v_add_co_u32_e32 v0, vcc, s0, v0
	s_waitcnt vmcnt(3)
	v_mul_f32_e64 v2, v6, -v5
	v_addc_co_u32_e32 v1, vcc, v3, v1, vcc
	global_store_dword v[0:1], v2, off
	s_endpgm
	.section	.rodata,"a",@progbits
	.p2align	6, 0x0
	.amdhsa_kernel _ZN9rocsparseL49gtsv_nopivot_strided_batch_pcr_pow2_stage1_kernelILj256EfEEviiiiPKT0_S3_S3_S3_PS1_S4_S4_S4_
		.amdhsa_group_segment_fixed_size 0
		.amdhsa_private_segment_fixed_size 0
		.amdhsa_kernarg_size 80
		.amdhsa_user_sgpr_count 6
		.amdhsa_user_sgpr_private_segment_buffer 1
		.amdhsa_user_sgpr_dispatch_ptr 0
		.amdhsa_user_sgpr_queue_ptr 0
		.amdhsa_user_sgpr_kernarg_segment_ptr 1
		.amdhsa_user_sgpr_dispatch_id 0
		.amdhsa_user_sgpr_flat_scratch_init 0
		.amdhsa_user_sgpr_kernarg_preload_length 0
		.amdhsa_user_sgpr_kernarg_preload_offset 0
		.amdhsa_user_sgpr_private_segment_size 0
		.amdhsa_uses_dynamic_stack 0
		.amdhsa_system_sgpr_private_segment_wavefront_offset 0
		.amdhsa_system_sgpr_workgroup_id_x 1
		.amdhsa_system_sgpr_workgroup_id_y 1
		.amdhsa_system_sgpr_workgroup_id_z 0
		.amdhsa_system_sgpr_workgroup_info 0
		.amdhsa_system_vgpr_workitem_id 0
		.amdhsa_next_free_vgpr 20
		.amdhsa_next_free_sgpr 27
		.amdhsa_accum_offset 20
		.amdhsa_reserve_vcc 1
		.amdhsa_reserve_flat_scratch 0
		.amdhsa_float_round_mode_32 0
		.amdhsa_float_round_mode_16_64 0
		.amdhsa_float_denorm_mode_32 3
		.amdhsa_float_denorm_mode_16_64 3
		.amdhsa_dx10_clamp 1
		.amdhsa_ieee_mode 1
		.amdhsa_fp16_overflow 0
		.amdhsa_tg_split 0
		.amdhsa_exception_fp_ieee_invalid_op 0
		.amdhsa_exception_fp_denorm_src 0
		.amdhsa_exception_fp_ieee_div_zero 0
		.amdhsa_exception_fp_ieee_overflow 0
		.amdhsa_exception_fp_ieee_underflow 0
		.amdhsa_exception_fp_ieee_inexact 0
		.amdhsa_exception_int_div_zero 0
	.end_amdhsa_kernel
	.section	.text._ZN9rocsparseL49gtsv_nopivot_strided_batch_pcr_pow2_stage1_kernelILj256EfEEviiiiPKT0_S3_S3_S3_PS1_S4_S4_S4_,"axG",@progbits,_ZN9rocsparseL49gtsv_nopivot_strided_batch_pcr_pow2_stage1_kernelILj256EfEEviiiiPKT0_S3_S3_S3_PS1_S4_S4_S4_,comdat
.Lfunc_end17:
	.size	_ZN9rocsparseL49gtsv_nopivot_strided_batch_pcr_pow2_stage1_kernelILj256EfEEviiiiPKT0_S3_S3_S3_PS1_S4_S4_S4_, .Lfunc_end17-_ZN9rocsparseL49gtsv_nopivot_strided_batch_pcr_pow2_stage1_kernelILj256EfEEviiiiPKT0_S3_S3_S3_PS1_S4_S4_S4_
                                        ; -- End function
	.section	.AMDGPU.csdata,"",@progbits
; Kernel info:
; codeLenInByte = 744
; NumSgprs: 31
; NumVgprs: 20
; NumAgprs: 0
; TotalNumVgprs: 20
; ScratchSize: 0
; MemoryBound: 0
; FloatMode: 240
; IeeeMode: 1
; LDSByteSize: 0 bytes/workgroup (compile time only)
; SGPRBlocks: 3
; VGPRBlocks: 2
; NumSGPRsForWavesPerEU: 31
; NumVGPRsForWavesPerEU: 20
; AccumOffset: 20
; Occupancy: 8
; WaveLimiterHint : 0
; COMPUTE_PGM_RSRC2:SCRATCH_EN: 0
; COMPUTE_PGM_RSRC2:USER_SGPR: 6
; COMPUTE_PGM_RSRC2:TRAP_HANDLER: 0
; COMPUTE_PGM_RSRC2:TGID_X_EN: 1
; COMPUTE_PGM_RSRC2:TGID_Y_EN: 1
; COMPUTE_PGM_RSRC2:TGID_Z_EN: 0
; COMPUTE_PGM_RSRC2:TIDIG_COMP_CNT: 0
; COMPUTE_PGM_RSRC3_GFX90A:ACCUM_OFFSET: 4
; COMPUTE_PGM_RSRC3_GFX90A:TG_SPLIT: 0
	.section	.text._ZN9rocsparseL48gtsv_nopivot_strided_batch_cr_pow2_stage2_kernelILj256EfEEviiiPKT0_S3_S3_S3_PS1_,"axG",@progbits,_ZN9rocsparseL48gtsv_nopivot_strided_batch_cr_pow2_stage2_kernelILj256EfEEviiiPKT0_S3_S3_S3_PS1_,comdat
	.globl	_ZN9rocsparseL48gtsv_nopivot_strided_batch_cr_pow2_stage2_kernelILj256EfEEviiiPKT0_S3_S3_S3_PS1_ ; -- Begin function _ZN9rocsparseL48gtsv_nopivot_strided_batch_cr_pow2_stage2_kernelILj256EfEEviiiPKT0_S3_S3_S3_PS1_
	.p2align	8
	.type	_ZN9rocsparseL48gtsv_nopivot_strided_batch_cr_pow2_stage2_kernelILj256EfEEviiiPKT0_S3_S3_S3_PS1_,@function
_ZN9rocsparseL48gtsv_nopivot_strided_batch_cr_pow2_stage2_kernelILj256EfEEviiiPKT0_S3_S3_S3_PS1_: ; @_ZN9rocsparseL48gtsv_nopivot_strided_batch_cr_pow2_stage2_kernelILj256EfEEviiiPKT0_S3_S3_S3_PS1_
; %bb.0:
	s_load_dword s0, s[4:5], 0x38
	s_load_dword s1, s[4:5], 0x0
	s_load_dwordx8 s[8:15], s[4:5], 0x10
	v_mov_b32_e32 v5, 0
	s_waitcnt lgkmcnt(0)
	v_mul_lo_u32 v1, s0, v0
	v_add_u32_e32 v1, s6, v1
	s_mul_i32 s1, s7, s1
	v_add_u32_e32 v4, s1, v1
	v_lshlrev_b64 v[2:3], 2, v[4:5]
	v_mov_b32_e32 v9, s9
	v_add_co_u32_e32 v6, vcc, s8, v2
	v_addc_co_u32_e32 v7, vcc, v9, v3, vcc
	global_load_dword v10, v[6:7], off
	v_mov_b32_e32 v11, s11
	v_add_co_u32_e32 v6, vcc, s10, v2
	v_addc_co_u32_e32 v7, vcc, v11, v3, vcc
	global_load_dword v12, v[6:7], off
	v_mov_b32_e32 v13, s13
	v_add_co_u32_e32 v6, vcc, s12, v2
	v_addc_co_u32_e32 v7, vcc, v13, v3, vcc
	v_mov_b32_e32 v15, s15
	v_add_co_u32_e32 v2, vcc, s14, v2
	v_addc_co_u32_e32 v3, vcc, v15, v3, vcc
	global_load_dword v16, v[2:3], off
	v_lshl_add_u32 v2, s0, 8, v1
	v_add_u32_e32 v4, s1, v2
	global_load_dword v14, v[6:7], off
	v_lshlrev_b64 v[6:7], 2, v[4:5]
	v_add_co_u32_e32 v8, vcc, s8, v6
	v_addc_co_u32_e32 v9, vcc, v9, v7, vcc
	global_load_dword v17, v[8:9], off
	v_add_co_u32_e32 v8, vcc, s10, v6
	v_addc_co_u32_e32 v9, vcc, v11, v7, vcc
	global_load_dword v11, v[8:9], off
	v_add_co_u32_e32 v8, vcc, s12, v6
	v_addc_co_u32_e32 v9, vcc, v13, v7, vcc
	v_add_co_u32_e32 v6, vcc, s14, v6
	global_load_dword v8, v[8:9], off
	v_addc_co_u32_e32 v7, vcc, v15, v7, vcc
	global_load_dword v6, v[6:7], off
	s_movk_i32 s0, 0x100
	v_lshlrev_b32_e32 v3, 2, v0
	v_add_u32_e32 v4, 1, v0
	v_cmp_gt_u32_e64 s[0:1], s0, v0
	ds_write2st64_b32 v3, v5, v5 offset0:24 offset1:28
	s_waitcnt vmcnt(3)
	ds_write2st64_b32 v3, v10, v17 offset1:4
	s_waitcnt vmcnt(2)
	ds_write2st64_b32 v3, v12, v11 offset0:8 offset1:12
	s_waitcnt vmcnt(1)
	ds_write2st64_b32 v3, v14, v8 offset0:16 offset1:20
	;; [unrolled: 2-line block ×3, first 2 shown]
	s_waitcnt lgkmcnt(0)
	s_barrier
	s_and_saveexec_b64 s[2:3], s[0:1]
	s_cbranch_execz .LBB18_2
; %bb.1:
	v_lshlrev_b32_e32 v5, 3, v4
	v_add_u32_e32 v10, -8, v5
	v_add_u32_e32 v6, 0x1f8, v5
	ds_read2st64_b64 v[6:9], v6 offset0:3 offset1:7
	ds_read_b64 v[10:11], v10
	ds_read_b64 v[12:13], v5 offset:8184
	v_lshlrev_b32_e32 v14, 1, v4
	v_min_u32_e32 v14, 0x1ff, v14
	v_lshlrev_b32_e32 v21, 2, v14
	s_waitcnt lgkmcnt(1)
	v_div_scale_f32 v16, s[8:9], v6, v6, v11
	v_rcp_f32_e32 v17, v16
	v_div_scale_f32 v19, vcc, v11, v6, v11
	v_add_u32_e32 v18, -4, v5
	v_fma_f32 v15, -v16, v17, 1.0
	v_fmac_f32_e32 v17, v15, v17
	ds_read2st64_b32 v[14:15], v21 offset1:8
	v_mul_f32_e32 v20, v19, v17
	v_fma_f32 v22, -v16, v20, v19
	v_fmac_f32_e32 v20, v22, v17
	v_fma_f32 v16, -v16, v20, v19
	s_waitcnt lgkmcnt(0)
	v_div_scale_f32 v19, s[8:9], v15, v15, v9
	v_rcp_f32_e32 v22, v19
	v_div_fmas_f32 v16, v16, v17, v20
	v_div_fixup_f32 v6, v16, v6, v11
	v_fma_f32 v7, -v6, v8, v7
	v_fma_f32 v11, -v19, v22, 1.0
	v_fmac_f32_e32 v22, v11, v22
	v_div_scale_f32 v11, vcc, v9, v15, v9
	v_mul_f32_e32 v16, v11, v22
	v_fma_f32 v17, -v19, v16, v11
	v_fmac_f32_e32 v16, v17, v22
	v_fma_f32 v11, -v19, v16, v11
	v_div_fmas_f32 v11, v11, v22, v16
	ds_read2st64_b32 v[16:17], v21 offset0:16 offset1:32
	v_div_fixup_f32 v9, v11, v15, v9
	v_fma_f32 v8, -v6, v12, v13
	v_mul_f32_e64 v6, v6, -v10
	v_fma_f32 v7, -v9, v14, v7
	s_waitcnt lgkmcnt(0)
	v_fma_f32 v8, -v9, v17, v8
	ds_write_b32 v5, v8 offset:8188
	ds_write_b32 v18, v6
	v_mul_f32_e64 v6, v9, -v16
	v_add_u32_e32 v5, 0xfc, v5
	ds_write2st64_b32 v5, v7, v6 offset0:7 offset1:15
.LBB18_2:
	s_or_b64 exec, exec, s[2:3]
	s_movk_i32 s2, 0x80
	v_cmp_gt_u32_e64 s[2:3], s2, v0
	s_waitcnt lgkmcnt(0)
	s_barrier
	s_and_saveexec_b64 s[8:9], s[2:3]
	s_cbranch_execz .LBB18_4
; %bb.3:
	v_lshlrev_b32_e32 v5, 4, v4
	v_add_u32_e32 v6, 0x400, v5
	v_add_u32_e32 v16, -4, v5
	ds_read2_b32 v[6:7], v6 offset0:253 offset1:255
	ds_read_b32 v12, v16
	v_add_u32_e32 v8, -12, v5
	ds_read_b32 v17, v8
	v_lshl_or_b32 v8, v4, 2, 1
	v_min_u32_e32 v10, 0x1ff, v8
	s_waitcnt lgkmcnt(1)
	v_div_scale_f32 v13, s[10:11], v6, v6, v12
	v_rcp_f32_e32 v14, v13
	v_lshlrev_b32_e32 v19, 2, v10
	ds_read2st64_b32 v[10:11], v19 offset1:8
	v_div_scale_f32 v15, vcc, v12, v6, v12
	v_fma_f32 v8, -v13, v14, 1.0
	v_fmac_f32_e32 v14, v8, v14
	v_add_u32_e32 v8, 0xc00, v5
	ds_read2_b32 v[8:9], v8 offset0:253 offset1:255
	v_mul_f32_e32 v18, v15, v14
	v_fma_f32 v20, -v13, v18, v15
	v_fmac_f32_e32 v18, v20, v14
	v_fma_f32 v13, -v13, v18, v15
	s_waitcnt lgkmcnt(0)
	v_div_scale_f32 v15, s[10:11], v11, v11, v9
	v_rcp_f32_e32 v20, v15
	v_div_fmas_f32 v13, v13, v14, v18
	v_div_fixup_f32 v6, v13, v6, v12
	v_fma_f32 v7, -v6, v8, v7
	v_fma_f32 v12, -v15, v20, 1.0
	v_fmac_f32_e32 v20, v12, v20
	v_div_scale_f32 v12, vcc, v9, v11, v9
	v_mul_f32_e32 v13, v12, v20
	v_fma_f32 v14, -v15, v13, v12
	v_fmac_f32_e32 v13, v14, v20
	v_fma_f32 v12, -v15, v13, v12
	v_div_fmas_f32 v18, v12, v20, v13
	v_add_u32_e32 v12, 0x1c00, v5
	ds_read2_b32 v[12:13], v12 offset0:253 offset1:255
	ds_read2st64_b32 v[14:15], v19 offset0:16 offset1:32
	v_div_fixup_f32 v9, v18, v11, v9
	v_fma_f32 v7, -v9, v10, v7
	s_waitcnt lgkmcnt(1)
	v_fma_f32 v8, -v6, v12, v13
	s_waitcnt lgkmcnt(0)
	v_fma_f32 v8, -v9, v15, v8
	v_mul_f32_e64 v6, v6, -v17
	ds_write_b32 v5, v8 offset:8188
	ds_write_b32 v16, v6
	v_mul_f32_e64 v6, v9, -v14
	v_add_u32_e32 v5, 0xfc, v5
	ds_write2st64_b32 v5, v7, v6 offset0:7 offset1:15
.LBB18_4:
	s_or_b64 exec, exec, s[8:9]
	v_cmp_gt_u32_e64 s[20:21], 64, v0
	s_waitcnt lgkmcnt(0)
	s_barrier
	s_and_saveexec_b64 s[8:9], s[20:21]
	s_cbranch_execz .LBB18_6
; %bb.5:
	v_lshlrev_b32_e32 v5, 5, v4
	v_add_u32_e32 v6, 0x400, v5
	v_add_u32_e32 v16, -4, v5
	ds_read2_b32 v[6:7], v6 offset0:251 offset1:255
	ds_read_b32 v12, v16
	v_subrev_u32_e32 v8, 20, v5
	ds_read_b32 v17, v8
	v_lshl_or_b32 v8, v4, 3, 3
	v_min_u32_e32 v10, 0x1ff, v8
	s_waitcnt lgkmcnt(1)
	v_div_scale_f32 v13, s[10:11], v6, v6, v12
	v_rcp_f32_e32 v14, v13
	v_lshlrev_b32_e32 v19, 2, v10
	ds_read2st64_b32 v[10:11], v19 offset1:8
	v_div_scale_f32 v15, vcc, v12, v6, v12
	v_fma_f32 v8, -v13, v14, 1.0
	v_fmac_f32_e32 v14, v8, v14
	v_add_u32_e32 v8, 0xc00, v5
	ds_read2_b32 v[8:9], v8 offset0:251 offset1:255
	v_mul_f32_e32 v18, v15, v14
	v_fma_f32 v20, -v13, v18, v15
	v_fmac_f32_e32 v18, v20, v14
	v_fma_f32 v13, -v13, v18, v15
	s_waitcnt lgkmcnt(0)
	v_div_scale_f32 v15, s[10:11], v11, v11, v9
	v_rcp_f32_e32 v20, v15
	v_div_fmas_f32 v13, v13, v14, v18
	v_div_fixup_f32 v6, v13, v6, v12
	v_fma_f32 v7, -v6, v8, v7
	v_fma_f32 v12, -v15, v20, 1.0
	v_fmac_f32_e32 v20, v12, v20
	v_div_scale_f32 v12, vcc, v9, v11, v9
	v_mul_f32_e32 v13, v12, v20
	v_fma_f32 v14, -v15, v13, v12
	v_fmac_f32_e32 v13, v14, v20
	v_fma_f32 v12, -v15, v13, v12
	v_div_fmas_f32 v18, v12, v20, v13
	v_add_u32_e32 v12, 0x1c00, v5
	ds_read2_b32 v[12:13], v12 offset0:251 offset1:255
	ds_read2st64_b32 v[14:15], v19 offset0:16 offset1:32
	v_div_fixup_f32 v9, v18, v11, v9
	v_fma_f32 v7, -v9, v10, v7
	s_waitcnt lgkmcnt(1)
	v_fma_f32 v8, -v6, v12, v13
	s_waitcnt lgkmcnt(0)
	v_fma_f32 v8, -v9, v15, v8
	v_mul_f32_e64 v6, v6, -v17
	ds_write_b32 v5, v8 offset:8188
	ds_write_b32 v16, v6
	v_mul_f32_e64 v6, v9, -v14
	v_add_u32_e32 v5, 0xfc, v5
	ds_write2st64_b32 v5, v7, v6 offset0:7 offset1:15
.LBB18_6:
	s_or_b64 exec, exec, s[8:9]
	v_cmp_gt_u32_e64 s[8:9], 32, v0
	s_waitcnt lgkmcnt(0)
	s_barrier
	s_and_saveexec_b64 s[10:11], s[8:9]
	s_cbranch_execz .LBB18_8
; %bb.7:
	v_lshlrev_b32_e32 v5, 6, v4
	v_add_u32_e32 v6, 0x400, v5
	v_add_u32_e32 v16, -4, v5
	ds_read2_b32 v[6:7], v6 offset0:247 offset1:255
	ds_read_b32 v12, v16
	v_subrev_u32_e32 v8, 36, v5
	ds_read_b32 v17, v8
	v_lshl_or_b32 v8, v4, 4, 7
	v_min_u32_e32 v10, 0x1ff, v8
	s_waitcnt lgkmcnt(1)
	v_div_scale_f32 v13, s[12:13], v6, v6, v12
	v_rcp_f32_e32 v14, v13
	v_lshlrev_b32_e32 v19, 2, v10
	ds_read2st64_b32 v[10:11], v19 offset1:8
	v_div_scale_f32 v15, vcc, v12, v6, v12
	v_fma_f32 v8, -v13, v14, 1.0
	v_fmac_f32_e32 v14, v8, v14
	v_add_u32_e32 v8, 0xc00, v5
	ds_read2_b32 v[8:9], v8 offset0:247 offset1:255
	v_mul_f32_e32 v18, v15, v14
	v_fma_f32 v20, -v13, v18, v15
	v_fmac_f32_e32 v18, v20, v14
	v_fma_f32 v13, -v13, v18, v15
	s_waitcnt lgkmcnt(0)
	v_div_scale_f32 v15, s[12:13], v11, v11, v9
	v_rcp_f32_e32 v20, v15
	v_div_fmas_f32 v13, v13, v14, v18
	v_div_fixup_f32 v6, v13, v6, v12
	v_fma_f32 v7, -v6, v8, v7
	v_fma_f32 v12, -v15, v20, 1.0
	v_fmac_f32_e32 v20, v12, v20
	v_div_scale_f32 v12, vcc, v9, v11, v9
	v_mul_f32_e32 v13, v12, v20
	v_fma_f32 v14, -v15, v13, v12
	v_fmac_f32_e32 v13, v14, v20
	v_fma_f32 v12, -v15, v13, v12
	v_div_fmas_f32 v18, v12, v20, v13
	v_add_u32_e32 v12, 0x1c00, v5
	ds_read2_b32 v[12:13], v12 offset0:247 offset1:255
	ds_read2st64_b32 v[14:15], v19 offset0:16 offset1:32
	v_div_fixup_f32 v9, v18, v11, v9
	v_fma_f32 v7, -v9, v10, v7
	s_waitcnt lgkmcnt(1)
	v_fma_f32 v8, -v6, v12, v13
	s_waitcnt lgkmcnt(0)
	v_fma_f32 v8, -v9, v15, v8
	v_mul_f32_e64 v6, v6, -v17
	ds_write_b32 v5, v8 offset:8188
	ds_write_b32 v16, v6
	v_mul_f32_e64 v6, v9, -v14
	v_add_u32_e32 v5, 0xfc, v5
	ds_write2st64_b32 v5, v7, v6 offset0:7 offset1:15
.LBB18_8:
	s_or_b64 exec, exec, s[10:11]
	v_cmp_gt_u32_e64 s[10:11], 16, v0
	s_waitcnt lgkmcnt(0)
	s_barrier
	s_and_saveexec_b64 s[12:13], s[10:11]
	s_cbranch_execz .LBB18_10
; %bb.9:
	v_lshlrev_b32_e32 v5, 7, v4
	v_add_u32_e32 v6, 0x400, v5
	v_add_u32_e32 v16, -4, v5
	ds_read2_b32 v[6:7], v6 offset0:239 offset1:255
	ds_read_b32 v12, v16
	v_add_u32_e32 v8, 0xffffffbc, v5
	ds_read_b32 v17, v8
	v_lshl_or_b32 v8, v4, 5, 15
	v_min_u32_e32 v10, 0x1ff, v8
	s_waitcnt lgkmcnt(1)
	v_div_scale_f32 v13, s[14:15], v6, v6, v12
	v_rcp_f32_e32 v14, v13
	v_lshlrev_b32_e32 v19, 2, v10
	ds_read2st64_b32 v[10:11], v19 offset1:8
	v_div_scale_f32 v15, vcc, v12, v6, v12
	v_fma_f32 v8, -v13, v14, 1.0
	v_fmac_f32_e32 v14, v8, v14
	v_add_u32_e32 v8, 0xc00, v5
	ds_read2_b32 v[8:9], v8 offset0:239 offset1:255
	v_mul_f32_e32 v18, v15, v14
	v_fma_f32 v20, -v13, v18, v15
	v_fmac_f32_e32 v18, v20, v14
	v_fma_f32 v13, -v13, v18, v15
	s_waitcnt lgkmcnt(0)
	v_div_scale_f32 v15, s[14:15], v11, v11, v9
	v_rcp_f32_e32 v20, v15
	v_div_fmas_f32 v13, v13, v14, v18
	v_div_fixup_f32 v6, v13, v6, v12
	v_fma_f32 v7, -v6, v8, v7
	v_fma_f32 v12, -v15, v20, 1.0
	v_fmac_f32_e32 v20, v12, v20
	v_div_scale_f32 v12, vcc, v9, v11, v9
	v_mul_f32_e32 v13, v12, v20
	v_fma_f32 v14, -v15, v13, v12
	v_fmac_f32_e32 v13, v14, v20
	v_fma_f32 v12, -v15, v13, v12
	v_div_fmas_f32 v18, v12, v20, v13
	v_add_u32_e32 v12, 0x1c00, v5
	ds_read2_b32 v[12:13], v12 offset0:239 offset1:255
	ds_read2st64_b32 v[14:15], v19 offset0:16 offset1:32
	v_div_fixup_f32 v9, v18, v11, v9
	v_fma_f32 v7, -v9, v10, v7
	s_waitcnt lgkmcnt(1)
	v_fma_f32 v8, -v6, v12, v13
	s_waitcnt lgkmcnt(0)
	v_fma_f32 v8, -v9, v15, v8
	v_mul_f32_e64 v6, v6, -v17
	ds_write_b32 v5, v8 offset:8188
	ds_write_b32 v16, v6
	v_mul_f32_e64 v6, v9, -v14
	v_add_u32_e32 v5, 0xfc, v5
	ds_write2st64_b32 v5, v7, v6 offset0:7 offset1:15
.LBB18_10:
	s_or_b64 exec, exec, s[12:13]
	v_cmp_gt_u32_e64 s[14:15], 8, v0
	s_waitcnt lgkmcnt(0)
	s_barrier
	s_and_saveexec_b64 s[12:13], s[14:15]
	s_cbranch_execz .LBB18_12
; %bb.11:
	v_lshlrev_b32_e32 v5, 8, v4
	v_add_u32_e32 v6, 0x400, v5
	v_add_u32_e32 v16, -4, v5
	ds_read2_b32 v[6:7], v6 offset0:223 offset1:255
	ds_read_b32 v12, v16
	v_add_u32_e32 v8, 0xffffff7c, v5
	ds_read_b32 v17, v8
	v_lshl_or_b32 v8, v4, 6, 31
	v_min_u32_e32 v10, 0x1ff, v8
	s_waitcnt lgkmcnt(1)
	v_div_scale_f32 v13, s[16:17], v6, v6, v12
	v_rcp_f32_e32 v14, v13
	v_lshlrev_b32_e32 v19, 2, v10
	ds_read2st64_b32 v[10:11], v19 offset1:8
	v_div_scale_f32 v15, vcc, v12, v6, v12
	v_fma_f32 v8, -v13, v14, 1.0
	v_fmac_f32_e32 v14, v8, v14
	v_add_u32_e32 v8, 0xc00, v5
	ds_read2_b32 v[8:9], v8 offset0:223 offset1:255
	v_mul_f32_e32 v18, v15, v14
	v_fma_f32 v20, -v13, v18, v15
	v_fmac_f32_e32 v18, v20, v14
	v_fma_f32 v13, -v13, v18, v15
	s_waitcnt lgkmcnt(0)
	v_div_scale_f32 v15, s[16:17], v11, v11, v9
	v_rcp_f32_e32 v20, v15
	v_div_fmas_f32 v13, v13, v14, v18
	v_div_fixup_f32 v6, v13, v6, v12
	v_fma_f32 v7, -v6, v8, v7
	v_fma_f32 v12, -v15, v20, 1.0
	v_fmac_f32_e32 v20, v12, v20
	v_div_scale_f32 v12, vcc, v9, v11, v9
	v_mul_f32_e32 v13, v12, v20
	v_fma_f32 v14, -v15, v13, v12
	v_fmac_f32_e32 v13, v14, v20
	v_fma_f32 v12, -v15, v13, v12
	v_div_fmas_f32 v18, v12, v20, v13
	v_add_u32_e32 v12, 0x1c00, v5
	ds_read2_b32 v[12:13], v12 offset0:223 offset1:255
	ds_read2st64_b32 v[14:15], v19 offset0:16 offset1:32
	v_div_fixup_f32 v9, v18, v11, v9
	v_fma_f32 v7, -v9, v10, v7
	s_waitcnt lgkmcnt(1)
	v_fma_f32 v8, -v6, v12, v13
	s_waitcnt lgkmcnt(0)
	v_fma_f32 v8, -v9, v15, v8
	v_mul_f32_e64 v6, v6, -v17
	ds_write_b32 v5, v8 offset:8188
	ds_write_b32 v16, v6
	v_mul_f32_e64 v6, v9, -v14
	v_add_u32_e32 v5, 0xfc, v5
	ds_write2st64_b32 v5, v7, v6 offset0:7 offset1:15
.LBB18_12:
	s_or_b64 exec, exec, s[12:13]
	v_cmp_gt_u32_e64 s[16:17], 4, v0
	s_waitcnt lgkmcnt(0)
	s_barrier
	s_and_saveexec_b64 s[12:13], s[16:17]
	s_cbranch_execz .LBB18_14
; %bb.13:
	v_lshlrev_b32_e32 v5, 9, v4
	v_add_u32_e32 v16, -4, v5
	ds_read_b32 v14, v16
	v_add_u32_e32 v17, 0xfc, v5
	v_add_u32_e32 v12, 0xfffffefc, v5
	ds_read2st64_b32 v[6:7], v17 offset0:6 offset1:7
	ds_read2st64_b32 v[8:9], v17 offset0:14 offset1:15
	;; [unrolled: 1-line block ×3, first 2 shown]
	ds_read_b32 v18, v12
	v_lshl_or_b32 v12, v4, 7, 63
	s_waitcnt lgkmcnt(3)
	v_div_scale_f32 v15, s[18:19], v6, v6, v14
	v_rcp_f32_e32 v19, v15
	v_min_u32_e32 v12, 0x1ff, v12
	v_lshlrev_b32_e32 v22, 2, v12
	v_div_scale_f32 v20, vcc, v14, v6, v14
	v_fma_f32 v13, -v15, v19, 1.0
	v_fmac_f32_e32 v19, v13, v19
	ds_read2st64_b32 v[12:13], v22 offset1:8
	v_mul_f32_e32 v21, v20, v19
	v_fma_f32 v23, -v15, v21, v20
	v_fmac_f32_e32 v21, v23, v19
	v_fma_f32 v15, -v15, v21, v20
	s_waitcnt lgkmcnt(0)
	v_div_scale_f32 v20, s[18:19], v13, v13, v9
	v_rcp_f32_e32 v23, v20
	v_div_fmas_f32 v15, v15, v19, v21
	v_div_fixup_f32 v6, v15, v6, v14
	v_fma_f32 v7, -v6, v8, v7
	v_fma_f32 v14, -v20, v23, 1.0
	v_fmac_f32_e32 v23, v14, v23
	v_div_scale_f32 v14, vcc, v9, v13, v9
	v_mul_f32_e32 v15, v14, v23
	v_fma_f32 v19, -v20, v15, v14
	v_fmac_f32_e32 v15, v19, v23
	v_fma_f32 v14, -v20, v15, v14
	v_div_fmas_f32 v19, v14, v23, v15
	ds_read2st64_b32 v[14:15], v22 offset0:16 offset1:32
	v_div_fixup_f32 v9, v19, v13, v9
	v_fma_f32 v8, -v6, v10, v11
	v_fma_f32 v7, -v9, v12, v7
	s_waitcnt lgkmcnt(0)
	v_fma_f32 v8, -v9, v15, v8
	ds_write_b32 v5, v8 offset:8188
	v_mul_f32_e64 v5, v6, -v18
	ds_write_b32 v16, v5
	v_mul_f32_e64 v5, v9, -v14
	ds_write2st64_b32 v17, v7, v5 offset0:7 offset1:15
.LBB18_14:
	s_or_b64 exec, exec, s[12:13]
	v_cmp_gt_u32_e64 s[18:19], 2, v0
	s_waitcnt lgkmcnt(0)
	s_barrier
	s_and_saveexec_b64 s[12:13], s[18:19]
	s_cbranch_execz .LBB18_16
; %bb.15:
	v_lshlrev_b32_e32 v14, 10, v4
	v_add_u32_e32 v16, 0xfc, v14
	v_add_u32_e32 v15, -4, v14
	ds_read2st64_b32 v[6:7], v16 offset0:5 offset1:7
	ds_read_b32 v10, v15
	v_add_u32_e32 v5, 0xfffffdfc, v14
	ds_read_b32 v17, v5
	v_mov_b32_e32 v5, 0x7f
	v_lshl_or_b32 v4, v4, 8, v5
	s_waitcnt lgkmcnt(1)
	v_div_scale_f32 v11, s[22:23], v6, v6, v10
	v_rcp_f32_e32 v12, v11
	v_min_u32_e32 v8, 0x1ff, v4
	v_lshlrev_b32_e32 v19, 2, v8
	ds_read2st64_b32 v[8:9], v19 offset1:8
	v_fma_f32 v4, -v11, v12, 1.0
	v_fmac_f32_e32 v12, v4, v12
	ds_read2st64_b32 v[4:5], v16 offset0:13 offset1:15
	v_div_scale_f32 v13, vcc, v10, v6, v10
	v_mul_f32_e32 v18, v13, v12
	v_fma_f32 v20, -v11, v18, v13
	v_fmac_f32_e32 v18, v20, v12
	v_fma_f32 v11, -v11, v18, v13
	s_waitcnt lgkmcnt(0)
	v_div_scale_f32 v13, s[22:23], v9, v9, v5
	v_rcp_f32_e32 v20, v13
	v_div_fmas_f32 v11, v11, v12, v18
	v_div_fixup_f32 v6, v11, v6, v10
	v_fma_f32 v4, -v6, v4, v7
	v_fma_f32 v10, -v13, v20, 1.0
	v_fmac_f32_e32 v20, v10, v20
	v_div_scale_f32 v10, vcc, v5, v9, v5
	v_mul_f32_e32 v11, v10, v20
	v_fma_f32 v12, -v13, v11, v10
	v_fmac_f32_e32 v11, v12, v20
	v_fma_f32 v10, -v13, v11, v10
	v_div_fmas_f32 v18, v10, v20, v11
	ds_read2st64_b32 v[10:11], v16 offset0:29 offset1:31
	ds_read2st64_b32 v[12:13], v19 offset0:16 offset1:32
	v_div_fixup_f32 v5, v18, v9, v5
	v_fma_f32 v4, -v5, v8, v4
	s_waitcnt lgkmcnt(1)
	v_fma_f32 v7, -v6, v10, v11
	s_waitcnt lgkmcnt(0)
	v_fma_f32 v7, -v5, v13, v7
	v_mul_f32_e64 v6, v6, -v17
	v_mul_f32_e64 v5, v5, -v12
	ds_write_b32 v14, v7 offset:8188
	ds_write_b32 v15, v6
	ds_write2st64_b32 v16, v4, v5 offset0:7 offset1:15
.LBB18_16:
	s_or_b64 exec, exec, s[12:13]
	v_cmp_ne_u32_e64 s[12:13], 0, v0
	v_cmp_eq_u32_e32 vcc, 0, v0
	s_waitcnt lgkmcnt(0)
	s_barrier
	s_and_saveexec_b64 s[22:23], vcc
	s_cbranch_execz .LBB18_18
; %bb.17:
	s_movk_i32 s6, 0xfc
	v_add_u32_e64 v10, s6, 0
	ds_read2st64_b32 v[4:5], v10 offset0:15 offset1:19
	ds_read2st64_b32 v[6:7], v10 offset0:7 offset1:11
	;; [unrolled: 1-line block ×3, first 2 shown]
	s_waitcnt lgkmcnt(1)
	v_mul_f32_e32 v11, v5, v6
	v_fma_f32 v11, v4, v7, -v11
	v_div_scale_f32 v12, s[24:25], v11, v11, 1.0
	v_rcp_f32_e32 v13, v12
	v_div_scale_f32 v14, vcc, 1.0, v11, 1.0
	s_waitcnt lgkmcnt(0)
	v_mul_f32_e32 v5, v5, v9
	v_fma_f32 v15, -v12, v13, 1.0
	v_fmac_f32_e32 v13, v15, v13
	v_mul_f32_e32 v15, v14, v13
	v_fma_f32 v16, -v12, v15, v14
	v_fmac_f32_e32 v15, v16, v13
	v_fma_f32 v12, -v12, v15, v14
	v_div_fmas_f32 v12, v12, v13, v15
	v_fma_f32 v4, v4, v8, -v5
	v_mul_f32_e32 v5, v6, v8
	v_div_fixup_f32 v11, v12, v11, 1.0
	v_fma_f32 v5, v7, v9, -v5
	v_mul_f32_e32 v4, v11, v4
	v_mul_f32_e32 v5, v11, v5
	ds_write2st64_b32 v10, v4, v5 offset0:27 offset1:31
.LBB18_18:
	s_or_b64 exec, exec, s[22:23]
	s_load_dwordx2 s[22:23], s[4:5], 0x30
	s_waitcnt lgkmcnt(0)
	s_barrier
	s_and_saveexec_b64 s[24:25], s[18:19]
	s_cbranch_execz .LBB18_24
; %bb.19:
	v_lshlrev_b32_e32 v4, 8, v0
	v_lshlrev_b32_e32 v4, 2, v4
                                        ; implicit-def: $vgpr5
	s_and_saveexec_b64 s[18:19], s[12:13]
	s_xor_b64 s[18:19], exec, s[18:19]
	s_cbranch_execz .LBB18_21
; %bb.20:
	v_add_u32_e32 v6, 0xfc, v4
	ds_read_b32 v5, v4 offset:8700
	ds_read2st64_b32 v[6:7], v6 offset0:1 offset1:23
	s_waitcnt lgkmcnt(0)
	v_fma_f32 v5, -v6, v7, v5
.LBB18_21:
	s_andn2_saveexec_b64 s[18:19], s[18:19]
	s_cbranch_execz .LBB18_23
; %bb.22:
	ds_read_b32 v5, v4 offset:8700
.LBB18_23:
	s_or_b64 exec, exec, s[18:19]
	v_add_u32_e32 v6, 0xfc, v4
	ds_read_b32 v8, v4 offset:7164
	ds_read2st64_b32 v[6:7], v6 offset0:9 offset1:17
	s_waitcnt lgkmcnt(0)
	v_fma_f32 v5, -v7, v8, v5
	v_div_scale_f32 v7, s[18:19], v6, v6, v5
	v_rcp_f32_e32 v8, v7
	v_div_scale_f32 v9, vcc, v5, v6, v5
	v_fma_f32 v10, -v7, v8, 1.0
	v_fmac_f32_e32 v8, v10, v8
	v_mul_f32_e32 v10, v9, v8
	v_fma_f32 v11, -v7, v10, v9
	v_fmac_f32_e32 v10, v11, v8
	v_fma_f32 v7, -v7, v10, v9
	v_div_fmas_f32 v7, v7, v8, v10
	v_div_fixup_f32 v5, v7, v6, v5
	ds_write_b32 v4, v5 offset:6652
.LBB18_24:
	s_or_b64 exec, exec, s[24:25]
	v_or_b32_e32 v4, 0x1800, v3
	s_waitcnt lgkmcnt(0)
	s_barrier
	s_and_saveexec_b64 s[18:19], s[16:17]
	s_cbranch_execz .LBB18_30
; %bb.25:
	v_lshlrev_b32_e32 v5, 7, v0
	v_lshlrev_b32_e32 v5, 2, v5
                                        ; implicit-def: $vgpr6
	s_and_saveexec_b64 s[16:17], s[12:13]
	s_xor_b64 s[16:17], exec, s[16:17]
	s_cbranch_execz .LBB18_27
; %bb.26:
	v_add_u32_e32 v6, 0xfc, v5
	ds_read_b32 v8, v5 offset:8444
	ds_read2st64_b32 v[6:7], v6 offset1:23
	s_waitcnt lgkmcnt(0)
	v_fma_f32 v6, -v6, v7, v8
.LBB18_27:
	s_andn2_saveexec_b64 s[16:17], s[16:17]
	s_cbranch_execz .LBB18_29
; %bb.28:
	ds_read_b32 v6, v5 offset:8444
.LBB18_29:
	s_or_b64 exec, exec, s[16:17]
	v_add_u32_e32 v7, 0xfc, v5
	ds_read_b32 v10, v5 offset:6652
	ds_read2st64_b32 v[8:9], v7 offset0:8 offset1:16
	s_waitcnt lgkmcnt(0)
	v_fma_f32 v6, -v9, v10, v6
	v_div_scale_f32 v7, s[16:17], v8, v8, v6
	v_rcp_f32_e32 v9, v7
	v_div_scale_f32 v10, vcc, v6, v8, v6
	v_fma_f32 v11, -v7, v9, 1.0
	v_fmac_f32_e32 v9, v11, v9
	v_mul_f32_e32 v11, v10, v9
	v_fma_f32 v12, -v7, v11, v10
	v_fmac_f32_e32 v11, v12, v9
	v_fma_f32 v7, -v7, v11, v10
	v_div_fmas_f32 v7, v7, v9, v11
	v_div_fixup_f32 v6, v7, v8, v6
	ds_write_b32 v5, v6 offset:6396
.LBB18_30:
	s_or_b64 exec, exec, s[18:19]
	s_waitcnt lgkmcnt(0)
	s_barrier
	s_and_saveexec_b64 s[16:17], s[14:15]
	s_cbranch_execz .LBB18_36
; %bb.31:
	v_lshlrev_b32_e32 v5, 6, v0
	v_lshlrev_b32_e32 v5, 2, v5
                                        ; implicit-def: $vgpr6
	s_and_saveexec_b64 s[14:15], s[12:13]
	s_xor_b64 s[14:15], exec, s[14:15]
	s_cbranch_execz .LBB18_33
; %bb.32:
	ds_read_b32 v6, v5 offset:124
	ds_read_b32 v7, v5 offset:8316
	ds_read_b32 v8, v5 offset:6140
	s_waitcnt lgkmcnt(0)
	v_fma_f32 v6, -v6, v8, v7
.LBB18_33:
	s_andn2_saveexec_b64 s[14:15], s[14:15]
	s_cbranch_execz .LBB18_35
; %bb.34:
	ds_read_b32 v6, v5 offset:8316
.LBB18_35:
	s_or_b64 exec, exec, s[14:15]
	v_add_u32_e32 v7, 0x7c, v5
	ds_read_b32 v10, v5 offset:6396
	ds_read2st64_b32 v[8:9], v7 offset0:8 offset1:16
	s_waitcnt lgkmcnt(0)
	v_fma_f32 v6, -v9, v10, v6
	v_div_scale_f32 v7, s[14:15], v8, v8, v6
	v_rcp_f32_e32 v9, v7
	v_div_scale_f32 v10, vcc, v6, v8, v6
	v_fma_f32 v11, -v7, v9, 1.0
	v_fmac_f32_e32 v9, v11, v9
	v_mul_f32_e32 v11, v10, v9
	v_fma_f32 v12, -v7, v11, v10
	v_fmac_f32_e32 v11, v12, v9
	v_fma_f32 v7, -v7, v11, v10
	v_div_fmas_f32 v7, v7, v9, v11
	v_div_fixup_f32 v6, v7, v8, v6
	ds_write_b32 v5, v6 offset:6268
.LBB18_36:
	s_or_b64 exec, exec, s[16:17]
	s_waitcnt lgkmcnt(0)
	s_barrier
	s_and_saveexec_b64 s[14:15], s[10:11]
	s_cbranch_execz .LBB18_42
; %bb.37:
	v_lshlrev_b32_e32 v5, 5, v0
	v_lshlrev_b32_e32 v5, 2, v5
                                        ; implicit-def: $vgpr6
	s_and_saveexec_b64 s[10:11], s[12:13]
	s_xor_b64 s[10:11], exec, s[10:11]
	s_cbranch_execz .LBB18_39
; %bb.38:
	ds_read_b32 v6, v5 offset:60
	ds_read_b32 v7, v5 offset:8252
	ds_read_b32 v8, v5 offset:6140
	s_waitcnt lgkmcnt(0)
	v_fma_f32 v6, -v6, v8, v7
.LBB18_39:
	s_andn2_saveexec_b64 s[10:11], s[10:11]
	s_cbranch_execz .LBB18_41
; %bb.40:
	ds_read_b32 v6, v5 offset:8252
.LBB18_41:
	s_or_b64 exec, exec, s[10:11]
	v_add_u32_e32 v7, 60, v5
	ds_read_b32 v10, v5 offset:6268
	ds_read2st64_b32 v[8:9], v7 offset0:8 offset1:16
	s_waitcnt lgkmcnt(0)
	v_fma_f32 v6, -v9, v10, v6
	v_div_scale_f32 v7, s[10:11], v8, v8, v6
	v_rcp_f32_e32 v9, v7
	v_div_scale_f32 v10, vcc, v6, v8, v6
	v_fma_f32 v11, -v7, v9, 1.0
	v_fmac_f32_e32 v9, v11, v9
	v_mul_f32_e32 v11, v10, v9
	v_fma_f32 v12, -v7, v11, v10
	v_fmac_f32_e32 v11, v12, v9
	v_fma_f32 v7, -v7, v11, v10
	v_div_fmas_f32 v7, v7, v9, v11
	v_div_fixup_f32 v6, v7, v8, v6
	ds_write_b32 v5, v6 offset:6204
.LBB18_42:
	;; [unrolled: 43-line block ×4, first 2 shown]
	s_or_b64 exec, exec, s[8:9]
	s_waitcnt lgkmcnt(0)
	s_barrier
	s_and_saveexec_b64 s[8:9], s[2:3]
	s_cbranch_execz .LBB18_60
; %bb.55:
	v_lshlrev_b32_e32 v3, 2, v3
                                        ; implicit-def: $vgpr5
	s_and_saveexec_b64 s[2:3], s[12:13]
	s_xor_b64 s[2:3], exec, s[2:3]
	s_cbranch_execz .LBB18_57
; %bb.56:
	ds_read_b32 v5, v3 offset:4
	ds_read_b32 v6, v3 offset:8196
	;; [unrolled: 1-line block ×3, first 2 shown]
	s_waitcnt lgkmcnt(0)
	v_fma_f32 v5, -v5, v7, v6
.LBB18_57:
	s_andn2_saveexec_b64 s[2:3], s[2:3]
	s_cbranch_execz .LBB18_59
; %bb.58:
	ds_read_b32 v5, v3 offset:8196
.LBB18_59:
	s_or_b64 exec, exec, s[2:3]
	v_add_u32_e32 v6, 4, v3
	ds_read_b32 v8, v3 offset:6156
	ds_read2st64_b32 v[6:7], v6 offset0:8 offset1:16
	s_waitcnt lgkmcnt(0)
	v_fma_f32 v5, -v7, v8, v5
	v_div_scale_f32 v7, s[2:3], v6, v6, v5
	v_rcp_f32_e32 v8, v7
	v_div_scale_f32 v9, vcc, v5, v6, v5
	v_fma_f32 v10, -v7, v8, 1.0
	v_fmac_f32_e32 v8, v10, v8
	v_mul_f32_e32 v10, v9, v8
	v_fma_f32 v11, -v7, v10, v9
	v_fmac_f32_e32 v10, v11, v8
	v_fma_f32 v7, -v7, v10, v9
	v_div_fmas_f32 v7, v7, v8, v10
	v_div_fixup_f32 v5, v7, v6, v5
	ds_write_b32 v3, v5 offset:6148
.LBB18_60:
	s_or_b64 exec, exec, s[8:9]
	s_waitcnt lgkmcnt(0)
	s_barrier
	s_and_saveexec_b64 s[2:3], s[0:1]
	s_cbranch_execz .LBB18_66
; %bb.61:
	v_lshlrev_b32_e32 v0, 1, v0
	v_lshlrev_b32_e32 v0, 2, v0
                                        ; implicit-def: $vgpr3
	s_and_saveexec_b64 s[0:1], s[12:13]
	s_xor_b64 s[0:1], exec, s[0:1]
	s_cbranch_execz .LBB18_63
; %bb.62:
	ds_read_b32 v3, v0
	ds_read_b32 v5, v0 offset:8192
	ds_read_b32 v6, v0 offset:6140
	s_waitcnt lgkmcnt(0)
	v_fma_f32 v3, -v3, v6, v5
.LBB18_63:
	s_andn2_saveexec_b64 s[0:1], s[0:1]
	s_cbranch_execz .LBB18_65
; %bb.64:
	ds_read_b32 v3, v0 offset:8192
.LBB18_65:
	s_or_b64 exec, exec, s[0:1]
	ds_read2st64_b32 v[6:7], v0 offset0:8 offset1:16
	ds_read_b32 v5, v0 offset:6148
	s_waitcnt lgkmcnt(0)
	v_fma_f32 v3, -v7, v5, v3
	v_div_scale_f32 v5, s[0:1], v6, v6, v3
	v_rcp_f32_e32 v7, v5
	v_div_scale_f32 v8, vcc, v3, v6, v3
	v_fma_f32 v9, -v5, v7, 1.0
	v_fmac_f32_e32 v7, v9, v7
	v_mul_f32_e32 v9, v8, v7
	v_fma_f32 v10, -v5, v9, v8
	v_fmac_f32_e32 v9, v10, v7
	v_fma_f32 v5, -v5, v9, v8
	v_div_fmas_f32 v5, v5, v7, v9
	v_div_fixup_f32 v3, v5, v6, v3
	ds_write_b32 v0, v3 offset:6144
.LBB18_66:
	s_or_b64 exec, exec, s[2:3]
	s_load_dword s0, s[4:5], 0x8
	s_waitcnt lgkmcnt(0)
	s_barrier
	ds_read2st64_b32 v[4:5], v4 offset1:4
	s_mul_i32 s7, s7, s0
	v_add_u32_e32 v0, s7, v1
	v_mov_b32_e32 v1, 0
	v_lshlrev_b64 v[6:7], 2, v[0:1]
	v_mov_b32_e32 v3, s23
	v_add_co_u32_e32 v6, vcc, s22, v6
	v_add_u32_e32 v0, s7, v2
	v_addc_co_u32_e32 v7, vcc, v3, v7, vcc
	v_lshlrev_b64 v[0:1], 2, v[0:1]
	v_add_co_u32_e32 v0, vcc, s22, v0
	v_addc_co_u32_e32 v1, vcc, v3, v1, vcc
	s_waitcnt lgkmcnt(0)
	global_store_dword v[6:7], v4, off
	global_store_dword v[0:1], v5, off
	s_endpgm
	.section	.rodata,"a",@progbits
	.p2align	6, 0x0
	.amdhsa_kernel _ZN9rocsparseL48gtsv_nopivot_strided_batch_cr_pow2_stage2_kernelILj256EfEEviiiPKT0_S3_S3_S3_PS1_
		.amdhsa_group_segment_fixed_size 10240
		.amdhsa_private_segment_fixed_size 0
		.amdhsa_kernarg_size 312
		.amdhsa_user_sgpr_count 6
		.amdhsa_user_sgpr_private_segment_buffer 1
		.amdhsa_user_sgpr_dispatch_ptr 0
		.amdhsa_user_sgpr_queue_ptr 0
		.amdhsa_user_sgpr_kernarg_segment_ptr 1
		.amdhsa_user_sgpr_dispatch_id 0
		.amdhsa_user_sgpr_flat_scratch_init 0
		.amdhsa_user_sgpr_kernarg_preload_length 0
		.amdhsa_user_sgpr_kernarg_preload_offset 0
		.amdhsa_user_sgpr_private_segment_size 0
		.amdhsa_uses_dynamic_stack 0
		.amdhsa_system_sgpr_private_segment_wavefront_offset 0
		.amdhsa_system_sgpr_workgroup_id_x 1
		.amdhsa_system_sgpr_workgroup_id_y 1
		.amdhsa_system_sgpr_workgroup_id_z 0
		.amdhsa_system_sgpr_workgroup_info 0
		.amdhsa_system_vgpr_workitem_id 0
		.amdhsa_next_free_vgpr 24
		.amdhsa_next_free_sgpr 26
		.amdhsa_accum_offset 24
		.amdhsa_reserve_vcc 1
		.amdhsa_reserve_flat_scratch 0
		.amdhsa_float_round_mode_32 0
		.amdhsa_float_round_mode_16_64 0
		.amdhsa_float_denorm_mode_32 3
		.amdhsa_float_denorm_mode_16_64 3
		.amdhsa_dx10_clamp 1
		.amdhsa_ieee_mode 1
		.amdhsa_fp16_overflow 0
		.amdhsa_tg_split 0
		.amdhsa_exception_fp_ieee_invalid_op 0
		.amdhsa_exception_fp_denorm_src 0
		.amdhsa_exception_fp_ieee_div_zero 0
		.amdhsa_exception_fp_ieee_overflow 0
		.amdhsa_exception_fp_ieee_underflow 0
		.amdhsa_exception_fp_ieee_inexact 0
		.amdhsa_exception_int_div_zero 0
	.end_amdhsa_kernel
	.section	.text._ZN9rocsparseL48gtsv_nopivot_strided_batch_cr_pow2_stage2_kernelILj256EfEEviiiPKT0_S3_S3_S3_PS1_,"axG",@progbits,_ZN9rocsparseL48gtsv_nopivot_strided_batch_cr_pow2_stage2_kernelILj256EfEEviiiPKT0_S3_S3_S3_PS1_,comdat
.Lfunc_end18:
	.size	_ZN9rocsparseL48gtsv_nopivot_strided_batch_cr_pow2_stage2_kernelILj256EfEEviiiPKT0_S3_S3_S3_PS1_, .Lfunc_end18-_ZN9rocsparseL48gtsv_nopivot_strided_batch_cr_pow2_stage2_kernelILj256EfEEviiiPKT0_S3_S3_S3_PS1_
                                        ; -- End function
	.section	.AMDGPU.csdata,"",@progbits
; Kernel info:
; codeLenInByte = 5252
; NumSgprs: 30
; NumVgprs: 24
; NumAgprs: 0
; TotalNumVgprs: 24
; ScratchSize: 0
; MemoryBound: 0
; FloatMode: 240
; IeeeMode: 1
; LDSByteSize: 10240 bytes/workgroup (compile time only)
; SGPRBlocks: 3
; VGPRBlocks: 2
; NumSGPRsForWavesPerEU: 30
; NumVGPRsForWavesPerEU: 24
; AccumOffset: 24
; Occupancy: 6
; WaveLimiterHint : 0
; COMPUTE_PGM_RSRC2:SCRATCH_EN: 0
; COMPUTE_PGM_RSRC2:USER_SGPR: 6
; COMPUTE_PGM_RSRC2:TRAP_HANDLER: 0
; COMPUTE_PGM_RSRC2:TGID_X_EN: 1
; COMPUTE_PGM_RSRC2:TGID_Y_EN: 1
; COMPUTE_PGM_RSRC2:TGID_Z_EN: 0
; COMPUTE_PGM_RSRC2:TIDIG_COMP_CNT: 0
; COMPUTE_PGM_RSRC3_GFX90A:ACCUM_OFFSET: 5
; COMPUTE_PGM_RSRC3_GFX90A:TG_SPLIT: 0
	.section	.text._ZN9rocsparseL44gtsv_nopivot_strided_batch_pcr_stage1_kernelILj256EfEEviiiiPKT0_S3_S3_S3_PS1_S4_S4_S4_,"axG",@progbits,_ZN9rocsparseL44gtsv_nopivot_strided_batch_pcr_stage1_kernelILj256EfEEviiiiPKT0_S3_S3_S3_PS1_S4_S4_S4_,comdat
	.globl	_ZN9rocsparseL44gtsv_nopivot_strided_batch_pcr_stage1_kernelILj256EfEEviiiiPKT0_S3_S3_S3_PS1_S4_S4_S4_ ; -- Begin function _ZN9rocsparseL44gtsv_nopivot_strided_batch_pcr_stage1_kernelILj256EfEEviiiiPKT0_S3_S3_S3_PS1_S4_S4_S4_
	.p2align	8
	.type	_ZN9rocsparseL44gtsv_nopivot_strided_batch_pcr_stage1_kernelILj256EfEEviiiiPKT0_S3_S3_S3_PS1_S4_S4_S4_,@function
_ZN9rocsparseL44gtsv_nopivot_strided_batch_pcr_stage1_kernelILj256EfEEviiiiPKT0_S3_S3_S3_PS1_S4_S4_S4_: ; @_ZN9rocsparseL44gtsv_nopivot_strided_batch_pcr_stage1_kernelILj256EfEEviiiiPKT0_S3_S3_S3_PS1_S4_S4_S4_
; %bb.0:
	s_load_dwordx2 s[0:1], s[4:5], 0x0
	v_lshl_or_b32 v0, s6, 8, v0
	s_waitcnt lgkmcnt(0)
	v_cmp_gt_i32_e32 vcc, s1, v0
	s_and_saveexec_b64 s[2:3], vcc
	s_cbranch_execz .LBB19_2
; %bb.1:
	s_load_dword s3, s[4:5], 0xc
	s_load_dwordx8 s[8:15], s[4:5], 0x30
	s_load_dwordx8 s[16:23], s[4:5], 0x10
	s_mul_i32 s2, s7, s1
	v_add_u32_e32 v1, s0, v0
	s_waitcnt lgkmcnt(0)
	s_mul_i32 s4, s7, s3
	s_ashr_i32 s5, s4, 31
	s_lshl_b64 s[6:7], s[4:5], 2
	s_add_u32 s24, s16, s6
	s_addc_u32 s25, s17, s7
	s_ashr_i32 s3, s2, 31
	s_lshl_b64 s[16:17], s[2:3], 2
	s_add_u32 s2, s8, s16
	s_addc_u32 s4, s9, s17
	s_add_u32 s8, s18, s6
	s_addc_u32 s9, s19, s7
	;; [unrolled: 2-line block ×7, first 2 shown]
	s_add_i32 s14, s1, -1
	v_mov_b32_e32 v2, s14
	v_cmp_gt_i32_e32 vcc, s1, v1
	v_cndmask_b32_e32 v2, v2, v1, vcc
	v_subrev_u32_e32 v1, s0, v0
	v_max_i32_e32 v4, 0, v1
	v_ashrrev_i32_e32 v1, 31, v0
	v_lshlrev_b64 v[0:1], 2, v[0:1]
	v_mov_b32_e32 v3, s25
	v_add_co_u32_e32 v6, vcc, s24, v0
	v_mov_b32_e32 v5, 0
	v_addc_co_u32_e32 v7, vcc, v3, v1, vcc
	v_lshlrev_b64 v[4:5], 2, v[4:5]
	global_load_dword v12, v[6:7], off
	v_mov_b32_e32 v3, s9
	v_add_co_u32_e32 v6, vcc, s8, v4
	v_addc_co_u32_e32 v7, vcc, v3, v5, vcc
	global_load_dword v13, v[6:7], off
	v_mov_b32_e32 v3, s19
	v_add_co_u32_e32 v6, vcc, s18, v0
	v_addc_co_u32_e32 v7, vcc, v3, v1, vcc
	v_ashrrev_i32_e32 v3, 31, v2
	v_lshlrev_b64 v[2:3], 2, v[2:3]
	global_load_dword v14, v[6:7], off
	v_mov_b32_e32 v7, s9
	v_add_co_u32_e32 v6, vcc, s8, v2
	v_addc_co_u32_e32 v7, vcc, v7, v3, vcc
	global_load_dword v15, v[6:7], off
	v_mov_b32_e32 v7, s7
	v_add_co_u32_e32 v6, vcc, s6, v2
	v_addc_co_u32_e32 v7, vcc, v7, v3, vcc
	v_mov_b32_e32 v9, s7
	v_add_co_u32_e32 v8, vcc, s6, v4
	v_addc_co_u32_e32 v9, vcc, v9, v5, vcc
	;; [unrolled: 3-line block ×3, first 2 shown]
	global_load_dword v16, v[10:11], off
	v_mov_b32_e32 v11, s19
	v_add_co_u32_e32 v10, vcc, s18, v4
	v_addc_co_u32_e32 v11, vcc, v11, v5, vcc
	global_load_dword v17, v[10:11], off
	v_mov_b32_e32 v11, s25
	v_add_co_u32_e32 v10, vcc, s24, v2
	v_addc_co_u32_e32 v11, vcc, v11, v3, vcc
	global_load_dword v18, v[10:11], off
	global_load_dword v19, v[8:9], off
	v_mov_b32_e32 v9, s7
	v_add_co_u32_e32 v8, vcc, s6, v0
	v_addc_co_u32_e32 v9, vcc, v9, v1, vcc
	global_load_dword v10, v[8:9], off
	;; [unrolled: 5-line block ×3, first 2 shown]
	v_mov_b32_e32 v5, s19
	v_add_co_u32_e32 v2, vcc, s18, v2
	v_addc_co_u32_e32 v3, vcc, v5, v3, vcc
	global_load_dword v5, v[2:3], off
	s_waitcnt vmcnt(10)
	v_div_scale_f32 v2, s[0:1], v13, v13, v12
	v_rcp_f32_e32 v3, v2
	v_fma_f32 v6, -v2, v3, 1.0
	v_fmac_f32_e32 v3, v6, v3
	v_div_scale_f32 v6, vcc, v12, v13, v12
	v_mul_f32_e32 v7, v6, v3
	v_fma_f32 v8, -v2, v7, v6
	v_fmac_f32_e32 v7, v8, v3
	v_fma_f32 v2, -v2, v7, v6
	s_waitcnt vmcnt(8)
	v_div_scale_f32 v6, s[0:1], v15, v15, v14
	v_rcp_f32_e32 v8, v6
	v_div_fmas_f32 v2, v2, v3, v7
	v_div_fixup_f32 v7, v2, v13, v12
	v_fma_f32 v2, -v6, v8, 1.0
	v_fmac_f32_e32 v8, v2, v8
	v_div_scale_f32 v2, vcc, v14, v15, v14
	v_mul_f32_e32 v3, v2, v8
	v_fma_f32 v9, -v6, v3, v2
	v_fmac_f32_e32 v3, v9, v8
	v_fma_f32 v2, -v6, v3, v2
	v_div_fmas_f32 v2, v2, v8, v3
	v_div_fixup_f32 v6, v2, v15, v14
	v_mov_b32_e32 v3, s11
	s_waitcnt vmcnt(6)
	v_fma_f32 v2, -v7, v17, v16
	s_waitcnt vmcnt(5)
	v_fma_f32 v8, -v6, v18, v2
	v_add_co_u32_e32 v2, vcc, s10, v0
	v_addc_co_u32_e32 v3, vcc, v3, v1, vcc
	global_store_dword v[2:3], v8, off
	s_waitcnt vmcnt(4)
	v_fma_f32 v2, -v7, v19, v10
	s_waitcnt vmcnt(3)
	v_fma_f32 v8, -v11, v6, v2
	v_mov_b32_e32 v3, s13
	v_add_co_u32_e32 v2, vcc, s12, v0
	v_addc_co_u32_e32 v3, vcc, v3, v1, vcc
	global_store_dword v[2:3], v8, off
	v_mov_b32_e32 v3, s4
	v_add_co_u32_e32 v2, vcc, s2, v0
	s_waitcnt vmcnt(3)
	v_mul_f32_e64 v4, v7, -v4
	v_addc_co_u32_e32 v3, vcc, v3, v1, vcc
	global_store_dword v[2:3], v4, off
	v_mov_b32_e32 v3, s5
	v_add_co_u32_e32 v0, vcc, s3, v0
	s_waitcnt vmcnt(3)
	v_mul_f32_e64 v2, v6, -v5
	v_addc_co_u32_e32 v1, vcc, v3, v1, vcc
	global_store_dword v[0:1], v2, off
.LBB19_2:
	s_endpgm
	.section	.rodata,"a",@progbits
	.p2align	6, 0x0
	.amdhsa_kernel _ZN9rocsparseL44gtsv_nopivot_strided_batch_pcr_stage1_kernelILj256EfEEviiiiPKT0_S3_S3_S3_PS1_S4_S4_S4_
		.amdhsa_group_segment_fixed_size 0
		.amdhsa_private_segment_fixed_size 0
		.amdhsa_kernarg_size 80
		.amdhsa_user_sgpr_count 6
		.amdhsa_user_sgpr_private_segment_buffer 1
		.amdhsa_user_sgpr_dispatch_ptr 0
		.amdhsa_user_sgpr_queue_ptr 0
		.amdhsa_user_sgpr_kernarg_segment_ptr 1
		.amdhsa_user_sgpr_dispatch_id 0
		.amdhsa_user_sgpr_flat_scratch_init 0
		.amdhsa_user_sgpr_kernarg_preload_length 0
		.amdhsa_user_sgpr_kernarg_preload_offset 0
		.amdhsa_user_sgpr_private_segment_size 0
		.amdhsa_uses_dynamic_stack 0
		.amdhsa_system_sgpr_private_segment_wavefront_offset 0
		.amdhsa_system_sgpr_workgroup_id_x 1
		.amdhsa_system_sgpr_workgroup_id_y 1
		.amdhsa_system_sgpr_workgroup_id_z 0
		.amdhsa_system_sgpr_workgroup_info 0
		.amdhsa_system_vgpr_workitem_id 0
		.amdhsa_next_free_vgpr 20
		.amdhsa_next_free_sgpr 26
		.amdhsa_accum_offset 20
		.amdhsa_reserve_vcc 1
		.amdhsa_reserve_flat_scratch 0
		.amdhsa_float_round_mode_32 0
		.amdhsa_float_round_mode_16_64 0
		.amdhsa_float_denorm_mode_32 3
		.amdhsa_float_denorm_mode_16_64 3
		.amdhsa_dx10_clamp 1
		.amdhsa_ieee_mode 1
		.amdhsa_fp16_overflow 0
		.amdhsa_tg_split 0
		.amdhsa_exception_fp_ieee_invalid_op 0
		.amdhsa_exception_fp_denorm_src 0
		.amdhsa_exception_fp_ieee_div_zero 0
		.amdhsa_exception_fp_ieee_overflow 0
		.amdhsa_exception_fp_ieee_underflow 0
		.amdhsa_exception_fp_ieee_inexact 0
		.amdhsa_exception_int_div_zero 0
	.end_amdhsa_kernel
	.section	.text._ZN9rocsparseL44gtsv_nopivot_strided_batch_pcr_stage1_kernelILj256EfEEviiiiPKT0_S3_S3_S3_PS1_S4_S4_S4_,"axG",@progbits,_ZN9rocsparseL44gtsv_nopivot_strided_batch_pcr_stage1_kernelILj256EfEEviiiiPKT0_S3_S3_S3_PS1_S4_S4_S4_,comdat
.Lfunc_end19:
	.size	_ZN9rocsparseL44gtsv_nopivot_strided_batch_pcr_stage1_kernelILj256EfEEviiiiPKT0_S3_S3_S3_PS1_S4_S4_S4_, .Lfunc_end19-_ZN9rocsparseL44gtsv_nopivot_strided_batch_pcr_stage1_kernelILj256EfEEviiiiPKT0_S3_S3_S3_PS1_S4_S4_S4_
                                        ; -- End function
	.section	.AMDGPU.csdata,"",@progbits
; Kernel info:
; codeLenInByte = 760
; NumSgprs: 30
; NumVgprs: 20
; NumAgprs: 0
; TotalNumVgprs: 20
; ScratchSize: 0
; MemoryBound: 0
; FloatMode: 240
; IeeeMode: 1
; LDSByteSize: 0 bytes/workgroup (compile time only)
; SGPRBlocks: 3
; VGPRBlocks: 2
; NumSGPRsForWavesPerEU: 30
; NumVGPRsForWavesPerEU: 20
; AccumOffset: 20
; Occupancy: 8
; WaveLimiterHint : 0
; COMPUTE_PGM_RSRC2:SCRATCH_EN: 0
; COMPUTE_PGM_RSRC2:USER_SGPR: 6
; COMPUTE_PGM_RSRC2:TRAP_HANDLER: 0
; COMPUTE_PGM_RSRC2:TGID_X_EN: 1
; COMPUTE_PGM_RSRC2:TGID_Y_EN: 1
; COMPUTE_PGM_RSRC2:TGID_Z_EN: 0
; COMPUTE_PGM_RSRC2:TIDIG_COMP_CNT: 0
; COMPUTE_PGM_RSRC3_GFX90A:ACCUM_OFFSET: 4
; COMPUTE_PGM_RSRC3_GFX90A:TG_SPLIT: 0
	.section	.text._ZN9rocsparseL44gtsv_nopivot_strided_batch_pcr_stage2_kernelILj512EfEEviiiPKT0_S3_S3_S3_PS1_,"axG",@progbits,_ZN9rocsparseL44gtsv_nopivot_strided_batch_pcr_stage2_kernelILj512EfEEviiiPKT0_S3_S3_S3_PS1_,comdat
	.globl	_ZN9rocsparseL44gtsv_nopivot_strided_batch_pcr_stage2_kernelILj512EfEEviiiPKT0_S3_S3_S3_PS1_ ; -- Begin function _ZN9rocsparseL44gtsv_nopivot_strided_batch_pcr_stage2_kernelILj512EfEEviiiPKT0_S3_S3_S3_PS1_
	.p2align	8
	.type	_ZN9rocsparseL44gtsv_nopivot_strided_batch_pcr_stage2_kernelILj512EfEEviiiPKT0_S3_S3_S3_PS1_,@function
_ZN9rocsparseL44gtsv_nopivot_strided_batch_pcr_stage2_kernelILj512EfEEviiiPKT0_S3_S3_S3_PS1_: ; @_ZN9rocsparseL44gtsv_nopivot_strided_batch_pcr_stage2_kernelILj512EfEEviiiPKT0_S3_S3_S3_PS1_
; %bb.0:
	s_load_dword s0, s[4:5], 0x38
	s_load_dword s1, s[4:5], 0x0
	s_load_dwordx8 s[8:15], s[4:5], 0x10
	v_max_u32_e32 v8, 1, v0
	v_lshlrev_b32_e32 v14, 2, v8
	s_waitcnt lgkmcnt(0)
	v_mul_lo_u32 v1, s0, v0
	s_mul_i32 s2, s7, s1
	s_add_i32 s3, s6, s1
	s_add_i32 s3, s3, s2
	v_add_u32_e32 v1, s6, v1
	s_sub_i32 s0, s3, s0
	v_add_u32_e32 v2, s2, v1
	v_mov_b32_e32 v3, s0
	v_cmp_gt_i32_e64 s[0:1], s1, v1
	v_cndmask_b32_e64 v2, v3, v2, s[0:1]
	v_mov_b32_e32 v3, 0
	v_lshlrev_b64 v[2:3], 2, v[2:3]
	v_mov_b32_e32 v5, s9
	v_add_co_u32_e32 v4, vcc, s8, v2
	v_addc_co_u32_e32 v5, vcc, v5, v3, vcc
	global_load_dword v6, v[4:5], off
	v_mov_b32_e32 v5, s11
	v_add_co_u32_e32 v4, vcc, s10, v2
	v_addc_co_u32_e32 v5, vcc, v5, v3, vcc
	global_load_dword v7, v[4:5], off
	;; [unrolled: 4-line block ×4, first 2 shown]
	v_min_u32_e32 v5, 0x1fe, v0
	v_lshlrev_b32_e32 v5, 2, v5
	v_lshlrev_b32_e32 v2, 2, v0
	v_min_u32_e32 v9, 0x1fd, v0
	v_max_u32_e32 v10, 2, v0
	v_add_u32_e32 v8, 0xfc, v14
	v_add_u32_e32 v12, 4, v5
	v_lshlrev_b32_e32 v15, 2, v10
	v_lshlrev_b32_e32 v16, 2, v9
	v_add_u32_e32 v17, -4, v14
	v_add_u32_e32 v19, 0xf8, v15
	v_add_u32_e32 v18, -8, v15
	s_waitcnt vmcnt(2)
	ds_write2st64_b32 v2, v6, v7 offset1:8
	s_waitcnt vmcnt(0)
	ds_write2st64_b32 v2, v4, v3 offset0:16 offset1:32
	s_waitcnt lgkmcnt(0)
	s_barrier
	ds_read2st64_b32 v[4:5], v2 offset1:8
	ds_read2st64_b32 v[6:7], v8 offset0:7 offset1:15
	ds_read2st64_b32 v[8:9], v2 offset0:16 offset1:32
	ds_read2st64_b32 v[10:11], v12 offset1:8
	ds_read2st64_b32 v[12:13], v12 offset0:16 offset1:32
	ds_read_b32 v3, v14 offset:8188
	ds_read_b32 v14, v17
	s_waitcnt lgkmcnt(5)
	v_div_scale_f32 v17, s[2:3], v6, v6, v4
	s_waitcnt lgkmcnt(3)
	v_div_scale_f32 v21, s[2:3], v11, v11, v8
	v_rcp_f32_e32 v22, v17
	v_rcp_f32_e32 v23, v21
	v_div_scale_f32 v20, vcc, v4, v6, v4
	v_fma_f32 v25, -v17, v22, 1.0
	v_fma_f32 v26, -v21, v23, 1.0
	v_fmac_f32_e32 v22, v25, v22
	v_div_scale_f32 v24, s[2:3], v8, v11, v8
	v_fmac_f32_e32 v23, v26, v23
	v_mul_f32_e32 v25, v20, v22
	v_mul_f32_e32 v26, v24, v23
	v_fma_f32 v27, -v17, v25, v20
	v_fma_f32 v28, -v21, v26, v24
	v_fmac_f32_e32 v25, v27, v22
	v_fmac_f32_e32 v26, v28, v23
	v_fma_f32 v17, -v17, v25, v20
	v_fma_f32 v20, -v21, v26, v24
	v_div_fmas_f32 v17, v17, v22, v25
	s_mov_b64 vcc, s[2:3]
	v_div_fixup_f32 v4, v17, v6, v4
	v_div_fmas_f32 v6, v20, v23, v26
	v_div_fixup_f32 v6, v6, v11, v8
	v_fma_f32 v5, -v4, v7, v5
	s_waitcnt lgkmcnt(1)
	v_fma_f32 v3, -v4, v3, v9
	s_waitcnt lgkmcnt(0)
	v_mul_f32_e64 v4, v4, -v14
	v_fma_f32 v5, -v6, v10, v5
	v_fma_f32 v3, -v6, v13, v3
	v_mul_f32_e64 v6, v6, -v12
	s_barrier
	ds_write2st64_b32 v2, v4, v5 offset1:8
	ds_write2st64_b32 v2, v6, v3 offset0:16 offset1:32
	s_waitcnt lgkmcnt(0)
	s_barrier
	ds_read2st64_b32 v[4:5], v2 offset1:8
	ds_read2st64_b32 v[6:7], v19 offset0:7 offset1:15
	v_add_u32_e32 v3, 8, v16
	ds_read2st64_b32 v[8:9], v2 offset0:16 offset1:32
	ds_read2st64_b32 v[10:11], v3 offset1:8
	s_waitcnt lgkmcnt(2)
	v_div_scale_f32 v12, s[2:3], v6, v6, v4
	v_rcp_f32_e32 v13, v12
	v_div_scale_f32 v14, vcc, v4, v6, v4
	s_waitcnt lgkmcnt(0)
	v_div_scale_f32 v16, s[2:3], v11, v11, v8
	v_fma_f32 v17, -v12, v13, 1.0
	v_fmac_f32_e32 v13, v17, v13
	v_mul_f32_e32 v17, v14, v13
	v_fma_f32 v19, -v12, v17, v14
	v_fmac_f32_e32 v17, v19, v13
	v_fma_f32 v12, -v12, v17, v14
	v_rcp_f32_e32 v14, v16
	v_div_fmas_f32 v12, v12, v13, v17
	v_div_fixup_f32 v4, v12, v6, v4
	v_fma_f32 v5, -v4, v7, v5
	v_fma_f32 v6, -v16, v14, 1.0
	v_fmac_f32_e32 v14, v6, v14
	v_div_scale_f32 v6, vcc, v8, v11, v8
	v_mul_f32_e32 v12, v6, v14
	v_fma_f32 v13, -v16, v12, v6
	v_fmac_f32_e32 v12, v13, v14
	v_fma_f32 v6, -v16, v12, v6
	v_div_fmas_f32 v6, v6, v14, v12
	v_div_fixup_f32 v6, v6, v11, v8
	ds_read_b32 v8, v15 offset:8184
	ds_read2st64_b32 v[12:13], v3 offset0:16 offset1:32
	ds_read_b32 v3, v18
	v_fma_f32 v5, -v6, v10, v5
	s_waitcnt lgkmcnt(0)
	v_fma_f32 v7, -v4, v8, v9
	v_fma_f32 v7, -v6, v13, v7
	v_mul_f32_e64 v3, v4, -v3
	v_mul_f32_e64 v4, v6, -v12
	s_barrier
	ds_write2st64_b32 v2, v3, v5 offset1:8
	ds_write2st64_b32 v2, v4, v7 offset0:16 offset1:32
	v_max_u32_e32 v3, 4, v0
	v_lshlrev_b32_e32 v3, 2, v3
	v_add_u32_e32 v6, 0xf0, v3
	s_waitcnt lgkmcnt(0)
	s_barrier
	ds_read2st64_b32 v[4:5], v2 offset1:8
	ds_read2st64_b32 v[6:7], v6 offset0:7 offset1:15
	v_min_u32_e32 v10, 0x1fb, v0
	v_lshlrev_b32_e32 v10, 2, v10
	v_add_u32_e32 v17, 16, v10
	ds_read2st64_b32 v[10:11], v17 offset1:8
	s_waitcnt lgkmcnt(1)
	v_div_scale_f32 v12, s[2:3], v6, v6, v4
	v_rcp_f32_e32 v13, v12
	v_div_scale_f32 v15, vcc, v4, v6, v4
	v_add_u32_e32 v14, -16, v3
	v_fma_f32 v8, -v12, v13, 1.0
	v_fmac_f32_e32 v13, v8, v13
	ds_read2st64_b32 v[8:9], v2 offset0:16 offset1:32
	v_mul_f32_e32 v16, v15, v13
	v_fma_f32 v18, -v12, v16, v15
	v_fmac_f32_e32 v16, v18, v13
	v_fma_f32 v12, -v12, v16, v15
	s_waitcnt lgkmcnt(0)
	v_div_scale_f32 v15, s[2:3], v11, v11, v8
	v_rcp_f32_e32 v18, v15
	v_div_fmas_f32 v12, v12, v13, v16
	v_div_fixup_f32 v4, v12, v6, v4
	v_fma_f32 v5, -v4, v7, v5
	v_fma_f32 v6, -v15, v18, 1.0
	v_fmac_f32_e32 v18, v6, v18
	v_div_scale_f32 v6, vcc, v8, v11, v8
	v_mul_f32_e32 v12, v6, v18
	v_fma_f32 v13, -v15, v12, v6
	v_fmac_f32_e32 v12, v13, v18
	v_fma_f32 v6, -v15, v12, v6
	v_div_fmas_f32 v6, v6, v18, v12
	v_div_fixup_f32 v6, v6, v11, v8
	ds_read_b32 v3, v3 offset:8176
	ds_read2st64_b32 v[12:13], v17 offset0:16 offset1:32
	ds_read_b32 v8, v14
	v_fma_f32 v5, -v6, v10, v5
	s_waitcnt lgkmcnt(0)
	v_fma_f32 v3, -v4, v3, v9
	v_fma_f32 v3, -v6, v13, v3
	v_mul_f32_e64 v4, v4, -v8
	v_mul_f32_e64 v6, v6, -v12
	s_barrier
	ds_write2st64_b32 v2, v4, v5 offset1:8
	ds_write2st64_b32 v2, v6, v3 offset0:16 offset1:32
	v_max_u32_e32 v3, 8, v0
	v_lshlrev_b32_e32 v3, 2, v3
	v_add_u32_e32 v6, 0xe0, v3
	s_waitcnt lgkmcnt(0)
	s_barrier
	ds_read2st64_b32 v[4:5], v2 offset1:8
	ds_read2st64_b32 v[6:7], v6 offset0:7 offset1:15
	v_min_u32_e32 v10, 0x1f7, v0
	v_lshlrev_b32_e32 v10, 2, v10
	v_add_u32_e32 v17, 32, v10
	ds_read2st64_b32 v[10:11], v17 offset1:8
	s_waitcnt lgkmcnt(1)
	v_div_scale_f32 v12, s[2:3], v6, v6, v4
	v_rcp_f32_e32 v13, v12
	v_div_scale_f32 v15, vcc, v4, v6, v4
	v_subrev_u32_e32 v14, 32, v3
	v_fma_f32 v8, -v12, v13, 1.0
	v_fmac_f32_e32 v13, v8, v13
	ds_read2st64_b32 v[8:9], v2 offset0:16 offset1:32
	v_mul_f32_e32 v16, v15, v13
	v_fma_f32 v18, -v12, v16, v15
	v_fmac_f32_e32 v16, v18, v13
	v_fma_f32 v12, -v12, v16, v15
	s_waitcnt lgkmcnt(0)
	v_div_scale_f32 v15, s[2:3], v11, v11, v8
	v_rcp_f32_e32 v18, v15
	v_div_fmas_f32 v12, v12, v13, v16
	v_div_fixup_f32 v4, v12, v6, v4
	v_fma_f32 v5, -v4, v7, v5
	v_fma_f32 v6, -v15, v18, 1.0
	v_fmac_f32_e32 v18, v6, v18
	v_div_scale_f32 v6, vcc, v8, v11, v8
	v_mul_f32_e32 v12, v6, v18
	v_fma_f32 v13, -v15, v12, v6
	v_fmac_f32_e32 v12, v13, v18
	v_fma_f32 v6, -v15, v12, v6
	v_div_fmas_f32 v6, v6, v18, v12
	v_div_fixup_f32 v6, v6, v11, v8
	ds_read_b32 v3, v3 offset:8160
	ds_read2st64_b32 v[12:13], v17 offset0:16 offset1:32
	ds_read_b32 v8, v14
	v_fma_f32 v5, -v6, v10, v5
	s_waitcnt lgkmcnt(0)
	v_fma_f32 v3, -v4, v3, v9
	v_fma_f32 v3, -v6, v13, v3
	v_mul_f32_e64 v4, v4, -v8
	v_mul_f32_e64 v6, v6, -v12
	s_barrier
	ds_write2st64_b32 v2, v4, v5 offset1:8
	ds_write2st64_b32 v2, v6, v3 offset0:16 offset1:32
	v_max_u32_e32 v3, 16, v0
	v_lshlrev_b32_e32 v3, 2, v3
	v_add_u32_e32 v6, 0xc0, v3
	s_waitcnt lgkmcnt(0)
	s_barrier
	ds_read2st64_b32 v[4:5], v2 offset1:8
	ds_read2st64_b32 v[6:7], v6 offset0:7 offset1:15
	v_min_u32_e32 v10, 0x1ef, v0
	v_lshlrev_b32_e32 v10, 2, v10
	v_add_u32_e32 v17, 64, v10
	ds_read2st64_b32 v[10:11], v17 offset1:8
	s_waitcnt lgkmcnt(1)
	v_div_scale_f32 v12, s[2:3], v6, v6, v4
	v_rcp_f32_e32 v13, v12
	v_div_scale_f32 v15, vcc, v4, v6, v4
	v_subrev_u32_e32 v14, 64, v3
	v_fma_f32 v8, -v12, v13, 1.0
	v_fmac_f32_e32 v13, v8, v13
	ds_read2st64_b32 v[8:9], v2 offset0:16 offset1:32
	v_mul_f32_e32 v16, v15, v13
	v_fma_f32 v18, -v12, v16, v15
	v_fmac_f32_e32 v16, v18, v13
	v_fma_f32 v12, -v12, v16, v15
	s_waitcnt lgkmcnt(0)
	v_div_scale_f32 v15, s[2:3], v11, v11, v8
	v_rcp_f32_e32 v18, v15
	v_div_fmas_f32 v12, v12, v13, v16
	v_div_fixup_f32 v4, v12, v6, v4
	v_fma_f32 v5, -v4, v7, v5
	v_fma_f32 v6, -v15, v18, 1.0
	v_fmac_f32_e32 v18, v6, v18
	v_div_scale_f32 v6, vcc, v8, v11, v8
	v_mul_f32_e32 v12, v6, v18
	v_fma_f32 v13, -v15, v12, v6
	v_fmac_f32_e32 v12, v13, v18
	v_fma_f32 v6, -v15, v12, v6
	v_div_fmas_f32 v6, v6, v18, v12
	v_div_fixup_f32 v6, v6, v11, v8
	ds_read_b32 v3, v3 offset:8128
	ds_read2st64_b32 v[12:13], v17 offset0:16 offset1:32
	ds_read_b32 v8, v14
	v_fma_f32 v5, -v6, v10, v5
	s_waitcnt lgkmcnt(0)
	v_fma_f32 v3, -v4, v3, v9
	v_fma_f32 v3, -v6, v13, v3
	v_mul_f32_e64 v4, v4, -v8
	v_mul_f32_e64 v6, v6, -v12
	s_barrier
	ds_write2st64_b32 v2, v4, v5 offset1:8
	ds_write2st64_b32 v2, v6, v3 offset0:16 offset1:32
	v_max_u32_e32 v3, 32, v0
	v_lshlrev_b32_e32 v3, 2, v3
	v_add_u32_e32 v6, 0x80, v3
	s_waitcnt lgkmcnt(0)
	s_barrier
	ds_read2st64_b32 v[4:5], v2 offset1:8
	ds_read2st64_b32 v[6:7], v6 offset0:7 offset1:15
	v_min_u32_e32 v10, 0x1df, v0
	v_lshlrev_b32_e32 v10, 2, v10
	v_add_u32_e32 v17, 0x80, v10
	ds_read2st64_b32 v[10:11], v17 offset1:8
	s_waitcnt lgkmcnt(1)
	v_div_scale_f32 v12, s[2:3], v6, v6, v4
	v_rcp_f32_e32 v13, v12
	v_div_scale_f32 v15, vcc, v4, v6, v4
	v_add_u32_e32 v14, 0xffffff80, v3
	v_fma_f32 v8, -v12, v13, 1.0
	v_fmac_f32_e32 v13, v8, v13
	ds_read2st64_b32 v[8:9], v2 offset0:16 offset1:32
	v_mul_f32_e32 v16, v15, v13
	v_fma_f32 v18, -v12, v16, v15
	v_fmac_f32_e32 v16, v18, v13
	v_fma_f32 v12, -v12, v16, v15
	s_waitcnt lgkmcnt(0)
	v_div_scale_f32 v15, s[2:3], v11, v11, v8
	v_rcp_f32_e32 v18, v15
	v_div_fmas_f32 v12, v12, v13, v16
	v_div_fixup_f32 v4, v12, v6, v4
	v_fma_f32 v5, -v4, v7, v5
	v_fma_f32 v6, -v15, v18, 1.0
	v_fmac_f32_e32 v18, v6, v18
	v_div_scale_f32 v6, vcc, v8, v11, v8
	v_mul_f32_e32 v12, v6, v18
	v_fma_f32 v13, -v15, v12, v6
	v_fmac_f32_e32 v12, v13, v18
	v_fma_f32 v6, -v15, v12, v6
	v_div_fmas_f32 v6, v6, v18, v12
	v_div_fixup_f32 v6, v6, v11, v8
	ds_read_b32 v3, v3 offset:8064
	ds_read2st64_b32 v[12:13], v17 offset0:16 offset1:32
	ds_read_b32 v8, v14
	v_fma_f32 v5, -v6, v10, v5
	s_waitcnt lgkmcnt(0)
	v_fma_f32 v3, -v4, v3, v9
	v_fma_f32 v3, -v6, v13, v3
	v_mul_f32_e64 v4, v4, -v8
	v_mul_f32_e64 v6, v6, -v12
	s_barrier
	ds_write2st64_b32 v2, v4, v5 offset1:8
	ds_write2st64_b32 v2, v6, v3 offset0:16 offset1:32
	v_max_u32_e32 v3, 64, v0
	s_waitcnt lgkmcnt(0)
	s_barrier
	v_lshlrev_b32_e32 v3, 2, v3
	ds_read2st64_b32 v[4:5], v2 offset1:8
	ds_read2st64_b32 v[6:7], v3 offset0:7 offset1:15
	v_min_u32_e32 v10, 0x1bf, v0
	v_lshlrev_b32_e32 v17, 2, v10
	ds_read2st64_b32 v[10:11], v17 offset0:1 offset1:9
	v_add_u32_e32 v14, 0xffffff00, v3
	s_waitcnt lgkmcnt(1)
	v_div_scale_f32 v12, s[2:3], v6, v6, v4
	v_rcp_f32_e32 v13, v12
	v_div_scale_f32 v15, vcc, v4, v6, v4
	v_fma_f32 v8, -v12, v13, 1.0
	v_fmac_f32_e32 v13, v8, v13
	ds_read2st64_b32 v[8:9], v2 offset0:16 offset1:32
	v_mul_f32_e32 v16, v15, v13
	v_fma_f32 v18, -v12, v16, v15
	v_fmac_f32_e32 v16, v18, v13
	v_fma_f32 v12, -v12, v16, v15
	s_waitcnt lgkmcnt(0)
	v_div_scale_f32 v15, s[2:3], v11, v11, v8
	v_rcp_f32_e32 v18, v15
	v_div_fmas_f32 v12, v12, v13, v16
	v_div_fixup_f32 v4, v12, v6, v4
	v_fma_f32 v5, -v4, v7, v5
	v_fma_f32 v6, -v15, v18, 1.0
	v_fmac_f32_e32 v18, v6, v18
	v_div_scale_f32 v6, vcc, v8, v11, v8
	v_mul_f32_e32 v12, v6, v18
	v_fma_f32 v13, -v15, v12, v6
	v_fmac_f32_e32 v12, v13, v18
	v_fma_f32 v6, -v15, v12, v6
	v_div_fmas_f32 v6, v6, v18, v12
	v_div_fixup_f32 v6, v6, v11, v8
	ds_read_b32 v3, v3 offset:7936
	ds_read2st64_b32 v[12:13], v17 offset0:17 offset1:33
	ds_read_b32 v8, v14
	v_fma_f32 v5, -v6, v10, v5
	s_waitcnt lgkmcnt(0)
	v_fma_f32 v3, -v4, v3, v9
	v_fma_f32 v3, -v6, v13, v3
	v_mul_f32_e64 v4, v4, -v8
	v_mul_f32_e64 v6, v6, -v12
	s_barrier
	ds_write2st64_b32 v2, v4, v5 offset1:8
	ds_write2st64_b32 v2, v6, v3 offset0:16 offset1:32
	v_max_u32_e32 v3, 0x80, v0
	s_waitcnt lgkmcnt(0)
	s_barrier
	v_lshlrev_b32_e32 v3, 2, v3
	ds_read2st64_b32 v[4:5], v2 offset1:8
	ds_read2st64_b32 v[6:7], v3 offset0:6 offset1:14
	v_min_u32_e32 v10, 0x17f, v0
	v_lshlrev_b32_e32 v17, 2, v10
	ds_read2st64_b32 v[10:11], v17 offset0:2 offset1:10
	v_add_u32_e32 v14, 0xfffffe00, v3
	s_waitcnt lgkmcnt(1)
	v_div_scale_f32 v12, s[2:3], v6, v6, v4
	v_rcp_f32_e32 v13, v12
	v_div_scale_f32 v15, vcc, v4, v6, v4
	v_fma_f32 v8, -v12, v13, 1.0
	v_fmac_f32_e32 v13, v8, v13
	ds_read2st64_b32 v[8:9], v2 offset0:16 offset1:32
	v_mul_f32_e32 v16, v15, v13
	v_fma_f32 v18, -v12, v16, v15
	v_fmac_f32_e32 v16, v18, v13
	v_fma_f32 v12, -v12, v16, v15
	s_waitcnt lgkmcnt(0)
	v_div_scale_f32 v15, s[2:3], v11, v11, v8
	v_rcp_f32_e32 v18, v15
	v_div_fmas_f32 v12, v12, v13, v16
	v_div_fixup_f32 v4, v12, v6, v4
	v_fma_f32 v5, -v4, v7, v5
	v_fma_f32 v6, -v15, v18, 1.0
	v_fmac_f32_e32 v18, v6, v18
	v_div_scale_f32 v6, vcc, v8, v11, v8
	v_mul_f32_e32 v12, v6, v18
	v_fma_f32 v13, -v15, v12, v6
	v_fmac_f32_e32 v12, v13, v18
	v_fma_f32 v6, -v15, v12, v6
	v_div_fmas_f32 v6, v6, v18, v12
	v_div_fixup_f32 v6, v6, v11, v8
	ds_read_b32 v3, v3 offset:7680
	ds_read2st64_b32 v[12:13], v17 offset0:18 offset1:34
	ds_read_b32 v8, v14
	s_movk_i32 s2, 0x100
	v_fma_f32 v5, -v6, v10, v5
	s_waitcnt lgkmcnt(2)
	v_fma_f32 v3, -v4, v3, v9
	v_cmp_gt_u32_e32 vcc, s2, v0
	s_waitcnt lgkmcnt(0)
	v_mul_f32_e64 v4, v4, -v8
	v_fma_f32 v3, -v6, v13, v3
	v_mul_f32_e64 v6, v6, -v12
	s_barrier
	ds_write2st64_b32 v2, v4, v5 offset1:8
	ds_write2st64_b32 v2, v6, v3 offset0:16 offset1:32
	s_waitcnt lgkmcnt(0)
	s_barrier
	s_and_saveexec_b64 s[2:3], vcc
	s_cbranch_execz .LBB20_2
; %bb.1:
	v_or_b32_e32 v3, 0x1000, v2
	v_or_b32_e32 v0, 0x800, v2
	ds_read_b32 v3, v3
	ds_read_b32 v8, v2 offset:1024
	ds_read2st64_b32 v[4:5], v0 offset1:4
	v_or_b32_e32 v6, 0x2000, v2
	s_waitcnt lgkmcnt(1)
	v_mul_f32_e32 v0, v3, v8
	s_waitcnt lgkmcnt(0)
	v_fma_f32 v0, v5, v4, -v0
	v_div_scale_f32 v9, s[8:9], v0, v0, 1.0
	v_rcp_f32_e32 v10, v9
	v_div_scale_f32 v11, vcc, 1.0, v0, 1.0
	v_fma_f32 v7, -v9, v10, 1.0
	v_fmac_f32_e32 v10, v7, v10
	v_mul_f32_e32 v12, v11, v10
	v_fma_f32 v7, -v9, v12, v11
	v_fmac_f32_e32 v12, v7, v10
	ds_read2st64_b32 v[6:7], v6 offset1:4
	v_fma_f32 v9, -v9, v12, v11
	v_div_fmas_f32 v9, v9, v10, v12
	v_div_fixup_f32 v0, v9, v0, 1.0
	s_waitcnt lgkmcnt(0)
	v_mul_f32_e32 v3, v3, v7
	v_fma_f32 v3, v5, v6, -v3
	v_mul_f32_e32 v5, v8, v6
	v_fma_f32 v4, v4, v7, -v5
	v_mul_f32_e32 v3, v0, v3
	v_mul_f32_e32 v0, v0, v4
	ds_write2st64_b32 v2, v3, v0 offset0:24 offset1:28
.LBB20_2:
	s_or_b64 exec, exec, s[2:3]
	s_waitcnt lgkmcnt(0)
	s_barrier
	s_and_saveexec_b64 s[2:3], s[0:1]
	s_cbranch_execz .LBB20_4
; %bb.3:
	s_load_dword s2, s[4:5], 0x8
	s_load_dwordx2 s[0:1], s[4:5], 0x30
	ds_read_b32 v4, v2 offset:6144
	v_mov_b32_e32 v3, 0
	s_waitcnt lgkmcnt(0)
	s_mul_i32 s7, s7, s2
	v_add_u32_e32 v2, s7, v1
	v_lshlrev_b64 v[0:1], 2, v[2:3]
	v_mov_b32_e32 v5, s1
	v_add_co_u32_e32 v0, vcc, s0, v0
	v_addc_co_u32_e32 v1, vcc, v5, v1, vcc
	global_store_dword v[0:1], v4, off
.LBB20_4:
	s_endpgm
	.section	.rodata,"a",@progbits
	.p2align	6, 0x0
	.amdhsa_kernel _ZN9rocsparseL44gtsv_nopivot_strided_batch_pcr_stage2_kernelILj512EfEEviiiPKT0_S3_S3_S3_PS1_
		.amdhsa_group_segment_fixed_size 10240
		.amdhsa_private_segment_fixed_size 0
		.amdhsa_kernarg_size 312
		.amdhsa_user_sgpr_count 6
		.amdhsa_user_sgpr_private_segment_buffer 1
		.amdhsa_user_sgpr_dispatch_ptr 0
		.amdhsa_user_sgpr_queue_ptr 0
		.amdhsa_user_sgpr_kernarg_segment_ptr 1
		.amdhsa_user_sgpr_dispatch_id 0
		.amdhsa_user_sgpr_flat_scratch_init 0
		.amdhsa_user_sgpr_kernarg_preload_length 0
		.amdhsa_user_sgpr_kernarg_preload_offset 0
		.amdhsa_user_sgpr_private_segment_size 0
		.amdhsa_uses_dynamic_stack 0
		.amdhsa_system_sgpr_private_segment_wavefront_offset 0
		.amdhsa_system_sgpr_workgroup_id_x 1
		.amdhsa_system_sgpr_workgroup_id_y 1
		.amdhsa_system_sgpr_workgroup_id_z 0
		.amdhsa_system_sgpr_workgroup_info 0
		.amdhsa_system_vgpr_workitem_id 0
		.amdhsa_next_free_vgpr 29
		.amdhsa_next_free_sgpr 16
		.amdhsa_accum_offset 32
		.amdhsa_reserve_vcc 1
		.amdhsa_reserve_flat_scratch 0
		.amdhsa_float_round_mode_32 0
		.amdhsa_float_round_mode_16_64 0
		.amdhsa_float_denorm_mode_32 3
		.amdhsa_float_denorm_mode_16_64 3
		.amdhsa_dx10_clamp 1
		.amdhsa_ieee_mode 1
		.amdhsa_fp16_overflow 0
		.amdhsa_tg_split 0
		.amdhsa_exception_fp_ieee_invalid_op 0
		.amdhsa_exception_fp_denorm_src 0
		.amdhsa_exception_fp_ieee_div_zero 0
		.amdhsa_exception_fp_ieee_overflow 0
		.amdhsa_exception_fp_ieee_underflow 0
		.amdhsa_exception_fp_ieee_inexact 0
		.amdhsa_exception_int_div_zero 0
	.end_amdhsa_kernel
	.section	.text._ZN9rocsparseL44gtsv_nopivot_strided_batch_pcr_stage2_kernelILj512EfEEviiiPKT0_S3_S3_S3_PS1_,"axG",@progbits,_ZN9rocsparseL44gtsv_nopivot_strided_batch_pcr_stage2_kernelILj512EfEEviiiPKT0_S3_S3_S3_PS1_,comdat
.Lfunc_end20:
	.size	_ZN9rocsparseL44gtsv_nopivot_strided_batch_pcr_stage2_kernelILj512EfEEviiiPKT0_S3_S3_S3_PS1_, .Lfunc_end20-_ZN9rocsparseL44gtsv_nopivot_strided_batch_pcr_stage2_kernelILj512EfEEviiiPKT0_S3_S3_S3_PS1_
                                        ; -- End function
	.section	.AMDGPU.csdata,"",@progbits
; Kernel info:
; codeLenInByte = 3108
; NumSgprs: 20
; NumVgprs: 29
; NumAgprs: 0
; TotalNumVgprs: 29
; ScratchSize: 0
; MemoryBound: 0
; FloatMode: 240
; IeeeMode: 1
; LDSByteSize: 10240 bytes/workgroup (compile time only)
; SGPRBlocks: 2
; VGPRBlocks: 3
; NumSGPRsForWavesPerEU: 20
; NumVGPRsForWavesPerEU: 29
; AccumOffset: 32
; Occupancy: 8
; WaveLimiterHint : 0
; COMPUTE_PGM_RSRC2:SCRATCH_EN: 0
; COMPUTE_PGM_RSRC2:USER_SGPR: 6
; COMPUTE_PGM_RSRC2:TRAP_HANDLER: 0
; COMPUTE_PGM_RSRC2:TGID_X_EN: 1
; COMPUTE_PGM_RSRC2:TGID_Y_EN: 1
; COMPUTE_PGM_RSRC2:TGID_Z_EN: 0
; COMPUTE_PGM_RSRC2:TIDIG_COMP_CNT: 0
; COMPUTE_PGM_RSRC3_GFX90A:ACCUM_OFFSET: 7
; COMPUTE_PGM_RSRC3_GFX90A:TG_SPLIT: 0
	.section	.text._ZN9rocsparseL49gtsv_nopivot_strided_batch_pcr_pow2_shared_kernelILj2EdEEviiiPKT0_S3_S3_PS1_,"axG",@progbits,_ZN9rocsparseL49gtsv_nopivot_strided_batch_pcr_pow2_shared_kernelILj2EdEEviiiPKT0_S3_S3_PS1_,comdat
	.globl	_ZN9rocsparseL49gtsv_nopivot_strided_batch_pcr_pow2_shared_kernelILj2EdEEviiiPKT0_S3_S3_PS1_ ; -- Begin function _ZN9rocsparseL49gtsv_nopivot_strided_batch_pcr_pow2_shared_kernelILj2EdEEviiiPKT0_S3_S3_PS1_
	.p2align	8
	.type	_ZN9rocsparseL49gtsv_nopivot_strided_batch_pcr_pow2_shared_kernelILj2EdEEviiiPKT0_S3_S3_PS1_,@function
_ZN9rocsparseL49gtsv_nopivot_strided_batch_pcr_pow2_shared_kernelILj2EdEEviiiPKT0_S3_S3_PS1_: ; @_ZN9rocsparseL49gtsv_nopivot_strided_batch_pcr_pow2_shared_kernelILj2EdEEviiiPKT0_S3_S3_PS1_
; %bb.0:
	s_load_dword s0, s[4:5], 0x8
	s_load_dwordx8 s[8:15], s[4:5], 0x10
	s_waitcnt lgkmcnt(0)
	s_mul_i32 s6, s6, s0
	v_add_u32_e32 v2, s6, v0
	v_ashrrev_i32_e32 v3, 31, v2
	v_lshlrev_b64 v[2:3], 3, v[2:3]
	v_mov_b32_e32 v1, s9
	v_add_co_u32_e32 v4, vcc, s8, v2
	v_addc_co_u32_e32 v5, vcc, v1, v3, vcc
	v_mov_b32_e32 v1, s11
	v_add_co_u32_e32 v6, vcc, s10, v2
	v_addc_co_u32_e32 v7, vcc, v1, v3, vcc
	;; [unrolled: 3-line block ×3, first 2 shown]
	v_mov_b32_e32 v1, s15
	v_add_co_u32_e32 v2, vcc, s14, v2
	global_load_dwordx2 v[4:5], v[4:5], off
	v_addc_co_u32_e32 v3, vcc, v1, v3, vcc
	global_load_dwordx2 v[6:7], v[6:7], off
	v_lshlrev_b32_e32 v1, 3, v0
	global_load_dwordx2 v[8:9], v[8:9], off
	v_cmp_eq_u32_e32 vcc, 0, v0
	global_load_dwordx2 v[10:11], v[2:3], off
	s_waitcnt vmcnt(2)
	ds_write2_b64 v1, v[4:5], v[6:7] offset1:4
	s_waitcnt vmcnt(0)
	ds_write2_b64 v1, v[8:9], v[10:11] offset0:8 offset1:16
	s_waitcnt lgkmcnt(0)
	; wave barrier
	s_waitcnt lgkmcnt(0)
	s_and_saveexec_b64 s[0:1], vcc
	s_cbranch_execz .LBB21_2
; %bb.1:
	v_or_b32_e32 v8, 64, v1
	v_mov_b32_e32 v26, 0
	v_or_b32_e32 v0, 32, v1
	ds_read2_b64 v[4:7], v26 offset0:1 offset1:5
	ds_read_b64 v[8:9], v8
	ds_read_b64 v[10:11], v0
	v_or_b32_e32 v0, 0x80, v1
	ds_read_b64 v[12:13], v0
	ds_read_b64 v[14:15], v26 offset:136
	s_waitcnt lgkmcnt(3)
	v_mul_f64 v[16:17], v[8:9], v[4:5]
	s_waitcnt lgkmcnt(2)
	v_fma_f64 v[16:17], v[6:7], v[10:11], -v[16:17]
	v_div_scale_f64 v[18:19], s[2:3], v[16:17], v[16:17], 1.0
	v_rcp_f64_e32 v[20:21], v[18:19]
	s_waitcnt lgkmcnt(0)
	v_mul_f64 v[8:9], v[8:9], v[14:15]
	v_mul_f64 v[4:5], v[4:5], v[12:13]
	v_fma_f64 v[6:7], v[6:7], v[12:13], -v[8:9]
	v_fma_f64 v[22:23], -v[18:19], v[20:21], 1.0
	v_fmac_f64_e32 v[20:21], v[20:21], v[22:23]
	v_fma_f64 v[22:23], -v[18:19], v[20:21], 1.0
	v_fmac_f64_e32 v[20:21], v[20:21], v[22:23]
	v_div_scale_f64 v[22:23], vcc, 1.0, v[16:17], 1.0
	v_mul_f64 v[24:25], v[22:23], v[20:21]
	v_fma_f64 v[18:19], -v[18:19], v[24:25], v[22:23]
	v_fma_f64 v[4:5], v[10:11], v[14:15], -v[4:5]
	s_nop 0
	v_div_fmas_f64 v[18:19], v[18:19], v[20:21], v[24:25]
	v_div_fixup_f64 v[16:17], v[18:19], v[16:17], 1.0
	v_mul_f64 v[6:7], v[16:17], v[6:7]
	v_mul_f64 v[8:9], v[16:17], v[4:5]
	ds_write_b128 v26, v[6:9] offset:96
.LBB21_2:
	s_or_b64 exec, exec, s[0:1]
	s_waitcnt lgkmcnt(0)
	; wave barrier
	s_waitcnt lgkmcnt(0)
	ds_read_b64 v[0:1], v1 offset:96
	s_waitcnt lgkmcnt(0)
	global_store_dwordx2 v[2:3], v[0:1], off
	s_endpgm
	.section	.rodata,"a",@progbits
	.p2align	6, 0x0
	.amdhsa_kernel _ZN9rocsparseL49gtsv_nopivot_strided_batch_pcr_pow2_shared_kernelILj2EdEEviiiPKT0_S3_S3_PS1_
		.amdhsa_group_segment_fixed_size 152
		.amdhsa_private_segment_fixed_size 0
		.amdhsa_kernarg_size 48
		.amdhsa_user_sgpr_count 6
		.amdhsa_user_sgpr_private_segment_buffer 1
		.amdhsa_user_sgpr_dispatch_ptr 0
		.amdhsa_user_sgpr_queue_ptr 0
		.amdhsa_user_sgpr_kernarg_segment_ptr 1
		.amdhsa_user_sgpr_dispatch_id 0
		.amdhsa_user_sgpr_flat_scratch_init 0
		.amdhsa_user_sgpr_kernarg_preload_length 0
		.amdhsa_user_sgpr_kernarg_preload_offset 0
		.amdhsa_user_sgpr_private_segment_size 0
		.amdhsa_uses_dynamic_stack 0
		.amdhsa_system_sgpr_private_segment_wavefront_offset 0
		.amdhsa_system_sgpr_workgroup_id_x 1
		.amdhsa_system_sgpr_workgroup_id_y 0
		.amdhsa_system_sgpr_workgroup_id_z 0
		.amdhsa_system_sgpr_workgroup_info 0
		.amdhsa_system_vgpr_workitem_id 0
		.amdhsa_next_free_vgpr 27
		.amdhsa_next_free_sgpr 16
		.amdhsa_accum_offset 28
		.amdhsa_reserve_vcc 1
		.amdhsa_reserve_flat_scratch 0
		.amdhsa_float_round_mode_32 0
		.amdhsa_float_round_mode_16_64 0
		.amdhsa_float_denorm_mode_32 3
		.amdhsa_float_denorm_mode_16_64 3
		.amdhsa_dx10_clamp 1
		.amdhsa_ieee_mode 1
		.amdhsa_fp16_overflow 0
		.amdhsa_tg_split 0
		.amdhsa_exception_fp_ieee_invalid_op 0
		.amdhsa_exception_fp_denorm_src 0
		.amdhsa_exception_fp_ieee_div_zero 0
		.amdhsa_exception_fp_ieee_overflow 0
		.amdhsa_exception_fp_ieee_underflow 0
		.amdhsa_exception_fp_ieee_inexact 0
		.amdhsa_exception_int_div_zero 0
	.end_amdhsa_kernel
	.section	.text._ZN9rocsparseL49gtsv_nopivot_strided_batch_pcr_pow2_shared_kernelILj2EdEEviiiPKT0_S3_S3_PS1_,"axG",@progbits,_ZN9rocsparseL49gtsv_nopivot_strided_batch_pcr_pow2_shared_kernelILj2EdEEviiiPKT0_S3_S3_PS1_,comdat
.Lfunc_end21:
	.size	_ZN9rocsparseL49gtsv_nopivot_strided_batch_pcr_pow2_shared_kernelILj2EdEEviiiPKT0_S3_S3_PS1_, .Lfunc_end21-_ZN9rocsparseL49gtsv_nopivot_strided_batch_pcr_pow2_shared_kernelILj2EdEEviiiPKT0_S3_S3_PS1_
                                        ; -- End function
	.section	.AMDGPU.csdata,"",@progbits
; Kernel info:
; codeLenInByte = 428
; NumSgprs: 20
; NumVgprs: 27
; NumAgprs: 0
; TotalNumVgprs: 27
; ScratchSize: 0
; MemoryBound: 1
; FloatMode: 240
; IeeeMode: 1
; LDSByteSize: 152 bytes/workgroup (compile time only)
; SGPRBlocks: 2
; VGPRBlocks: 3
; NumSGPRsForWavesPerEU: 20
; NumVGPRsForWavesPerEU: 27
; AccumOffset: 28
; Occupancy: 8
; WaveLimiterHint : 1
; COMPUTE_PGM_RSRC2:SCRATCH_EN: 0
; COMPUTE_PGM_RSRC2:USER_SGPR: 6
; COMPUTE_PGM_RSRC2:TRAP_HANDLER: 0
; COMPUTE_PGM_RSRC2:TGID_X_EN: 1
; COMPUTE_PGM_RSRC2:TGID_Y_EN: 0
; COMPUTE_PGM_RSRC2:TGID_Z_EN: 0
; COMPUTE_PGM_RSRC2:TIDIG_COMP_CNT: 0
; COMPUTE_PGM_RSRC3_GFX90A:ACCUM_OFFSET: 6
; COMPUTE_PGM_RSRC3_GFX90A:TG_SPLIT: 0
	.section	.text._ZN9rocsparseL49gtsv_nopivot_strided_batch_pcr_pow2_shared_kernelILj4EdEEviiiPKT0_S3_S3_PS1_,"axG",@progbits,_ZN9rocsparseL49gtsv_nopivot_strided_batch_pcr_pow2_shared_kernelILj4EdEEviiiPKT0_S3_S3_PS1_,comdat
	.globl	_ZN9rocsparseL49gtsv_nopivot_strided_batch_pcr_pow2_shared_kernelILj4EdEEviiiPKT0_S3_S3_PS1_ ; -- Begin function _ZN9rocsparseL49gtsv_nopivot_strided_batch_pcr_pow2_shared_kernelILj4EdEEviiiPKT0_S3_S3_PS1_
	.p2align	8
	.type	_ZN9rocsparseL49gtsv_nopivot_strided_batch_pcr_pow2_shared_kernelILj4EdEEviiiPKT0_S3_S3_PS1_,@function
_ZN9rocsparseL49gtsv_nopivot_strided_batch_pcr_pow2_shared_kernelILj4EdEEviiiPKT0_S3_S3_PS1_: ; @_ZN9rocsparseL49gtsv_nopivot_strided_batch_pcr_pow2_shared_kernelILj4EdEEviiiPKT0_S3_S3_PS1_
; %bb.0:
	s_load_dword s0, s[4:5], 0x8
	s_load_dwordx8 s[8:15], s[4:5], 0x10
	v_max_u32_e32 v13, 1, v0
	v_min_u32_e32 v12, 2, v0
	v_lshlrev_b32_e32 v24, 3, v13
	s_waitcnt lgkmcnt(0)
	s_mul_i32 s6, s6, s0
	v_add_u32_e32 v2, s6, v0
	v_ashrrev_i32_e32 v3, 31, v2
	v_lshlrev_b64 v[2:3], 3, v[2:3]
	v_mov_b32_e32 v1, s9
	v_add_co_u32_e32 v4, vcc, s8, v2
	v_addc_co_u32_e32 v5, vcc, v1, v3, vcc
	v_mov_b32_e32 v1, s11
	v_add_co_u32_e32 v6, vcc, s10, v2
	v_addc_co_u32_e32 v7, vcc, v1, v3, vcc
	;; [unrolled: 3-line block ×3, first 2 shown]
	v_mov_b32_e32 v1, s15
	v_add_co_u32_e32 v2, vcc, s14, v2
	global_load_dwordx2 v[4:5], v[4:5], off
	v_addc_co_u32_e32 v3, vcc, v1, v3, vcc
	global_load_dwordx2 v[6:7], v[6:7], off
	v_lshlrev_b32_e32 v1, 3, v0
	global_load_dwordx2 v[8:9], v[8:9], off
	v_lshlrev_b32_e32 v20, 3, v12
	global_load_dwordx2 v[10:11], v[2:3], off
	v_add_u32_e32 v26, -8, v24
	s_waitcnt vmcnt(2)
	ds_write2_b64 v1, v[4:5], v[6:7] offset1:6
	s_waitcnt vmcnt(0)
	ds_write2_b64 v1, v[8:9], v[10:11] offset0:12 offset1:24
	s_waitcnt lgkmcnt(0)
	; wave barrier
	s_waitcnt lgkmcnt(0)
	ds_read2_b64 v[4:7], v1 offset1:6
	ds_read2_b64 v[8:11], v24 offset0:5 offset1:11
	ds_read2_b64 v[12:15], v1 offset0:12 offset1:24
	;; [unrolled: 1-line block ×4, first 2 shown]
	ds_read_b64 v[24:25], v24 offset:184
	ds_read_b64 v[26:27], v26
	s_waitcnt lgkmcnt(5)
	v_div_scale_f64 v[28:29], s[0:1], v[8:9], v[8:9], v[4:5]
	s_waitcnt lgkmcnt(3)
	v_div_scale_f64 v[32:33], s[0:1], v[18:19], v[18:19], v[12:13]
	v_rcp_f64_e32 v[34:35], v[28:29]
	v_rcp_f64_e32 v[36:37], v[32:33]
	v_div_scale_f64 v[30:31], vcc, v[4:5], v[8:9], v[4:5]
	v_fma_f64 v[40:41], -v[28:29], v[34:35], 1.0
	v_fma_f64 v[42:43], -v[32:33], v[36:37], 1.0
	v_fmac_f64_e32 v[34:35], v[34:35], v[40:41]
	v_fmac_f64_e32 v[36:37], v[36:37], v[42:43]
	v_fma_f64 v[40:41], -v[28:29], v[34:35], 1.0
	v_fma_f64 v[42:43], -v[32:33], v[36:37], 1.0
	v_fmac_f64_e32 v[34:35], v[34:35], v[40:41]
	v_div_scale_f64 v[38:39], s[0:1], v[12:13], v[18:19], v[12:13]
	v_fmac_f64_e32 v[36:37], v[36:37], v[42:43]
	v_mul_f64 v[40:41], v[30:31], v[34:35]
	v_mul_f64 v[42:43], v[38:39], v[36:37]
	v_fma_f64 v[28:29], -v[28:29], v[40:41], v[30:31]
	v_fma_f64 v[30:31], -v[32:33], v[42:43], v[38:39]
	v_div_fmas_f64 v[28:29], v[28:29], v[34:35], v[40:41]
	s_mov_b64 vcc, s[0:1]
	v_div_fixup_f64 v[4:5], v[28:29], v[8:9], v[4:5]
	v_div_fmas_f64 v[8:9], v[30:31], v[36:37], v[42:43]
	v_div_fixup_f64 v[8:9], v[8:9], v[18:19], v[12:13]
	v_fma_f64 v[6:7], -v[4:5], v[10:11], v[6:7]
	s_waitcnt lgkmcnt(1)
	v_fma_f64 v[10:11], -v[4:5], v[24:25], v[14:15]
	s_waitcnt lgkmcnt(0)
	v_mul_f64 v[4:5], v[4:5], -v[26:27]
	v_fma_f64 v[6:7], -v[8:9], v[16:17], v[6:7]
	v_cmp_gt_u32_e32 vcc, 2, v0
	s_waitcnt lgkmcnt(0)
	; wave barrier
	v_fma_f64 v[10:11], -v[8:9], v[22:23], v[10:11]
	v_mul_f64 v[8:9], v[8:9], -v[20:21]
	ds_write2_b64 v1, v[4:5], v[6:7] offset1:6
	ds_write2_b64 v1, v[8:9], v[10:11] offset0:12 offset1:24
	s_waitcnt lgkmcnt(0)
	; wave barrier
	s_waitcnt lgkmcnt(0)
	s_and_saveexec_b64 s[0:1], vcc
	s_cbranch_execz .LBB22_2
; %bb.1:
	v_or_b32_e32 v4, 0x60, v1
	v_add_u32_e32 v0, 48, v1
	ds_read_b64 v[12:13], v4
	ds_read_b64 v[14:15], v1 offset:16
	ds_read2_b64 v[4:7], v0 offset1:2
	v_or_b32_e32 v0, 0xc0, v1
	s_waitcnt lgkmcnt(1)
	v_mul_f64 v[8:9], v[12:13], v[14:15]
	s_waitcnt lgkmcnt(0)
	v_fma_f64 v[16:17], v[6:7], v[4:5], -v[8:9]
	v_div_scale_f64 v[18:19], s[2:3], v[16:17], v[16:17], 1.0
	v_rcp_f64_e32 v[20:21], v[18:19]
	v_div_scale_f64 v[22:23], vcc, 1.0, v[16:17], 1.0
	v_fma_f64 v[8:9], -v[18:19], v[20:21], 1.0
	v_fmac_f64_e32 v[20:21], v[20:21], v[8:9]
	v_fma_f64 v[8:9], -v[18:19], v[20:21], 1.0
	v_fmac_f64_e32 v[20:21], v[20:21], v[8:9]
	ds_read2_b64 v[8:11], v0 offset1:2
	v_mul_f64 v[24:25], v[22:23], v[20:21]
	v_fma_f64 v[18:19], -v[18:19], v[24:25], v[22:23]
	v_div_fmas_f64 v[18:19], v[18:19], v[20:21], v[24:25]
	v_div_fixup_f64 v[16:17], v[18:19], v[16:17], 1.0
	s_waitcnt lgkmcnt(0)
	v_mul_f64 v[12:13], v[12:13], v[10:11]
	v_fma_f64 v[6:7], v[6:7], v[8:9], -v[12:13]
	v_mul_f64 v[8:9], v[14:15], v[8:9]
	v_fma_f64 v[4:5], v[4:5], v[10:11], -v[8:9]
	v_mul_f64 v[6:7], v[16:17], v[6:7]
	v_mul_f64 v[4:5], v[16:17], v[4:5]
	ds_write2_b64 v1, v[6:7], v[4:5] offset0:18 offset1:20
.LBB22_2:
	s_or_b64 exec, exec, s[0:1]
	s_waitcnt lgkmcnt(0)
	; wave barrier
	s_waitcnt lgkmcnt(0)
	ds_read_b64 v[0:1], v1 offset:144
	s_waitcnt lgkmcnt(0)
	global_store_dwordx2 v[2:3], v[0:1], off
	s_endpgm
	.section	.rodata,"a",@progbits
	.p2align	6, 0x0
	.amdhsa_kernel _ZN9rocsparseL49gtsv_nopivot_strided_batch_pcr_pow2_shared_kernelILj4EdEEviiiPKT0_S3_S3_PS1_
		.amdhsa_group_segment_fixed_size 232
		.amdhsa_private_segment_fixed_size 0
		.amdhsa_kernarg_size 48
		.amdhsa_user_sgpr_count 6
		.amdhsa_user_sgpr_private_segment_buffer 1
		.amdhsa_user_sgpr_dispatch_ptr 0
		.amdhsa_user_sgpr_queue_ptr 0
		.amdhsa_user_sgpr_kernarg_segment_ptr 1
		.amdhsa_user_sgpr_dispatch_id 0
		.amdhsa_user_sgpr_flat_scratch_init 0
		.amdhsa_user_sgpr_kernarg_preload_length 0
		.amdhsa_user_sgpr_kernarg_preload_offset 0
		.amdhsa_user_sgpr_private_segment_size 0
		.amdhsa_uses_dynamic_stack 0
		.amdhsa_system_sgpr_private_segment_wavefront_offset 0
		.amdhsa_system_sgpr_workgroup_id_x 1
		.amdhsa_system_sgpr_workgroup_id_y 0
		.amdhsa_system_sgpr_workgroup_id_z 0
		.amdhsa_system_sgpr_workgroup_info 0
		.amdhsa_system_vgpr_workitem_id 0
		.amdhsa_next_free_vgpr 44
		.amdhsa_next_free_sgpr 16
		.amdhsa_accum_offset 44
		.amdhsa_reserve_vcc 1
		.amdhsa_reserve_flat_scratch 0
		.amdhsa_float_round_mode_32 0
		.amdhsa_float_round_mode_16_64 0
		.amdhsa_float_denorm_mode_32 3
		.amdhsa_float_denorm_mode_16_64 3
		.amdhsa_dx10_clamp 1
		.amdhsa_ieee_mode 1
		.amdhsa_fp16_overflow 0
		.amdhsa_tg_split 0
		.amdhsa_exception_fp_ieee_invalid_op 0
		.amdhsa_exception_fp_denorm_src 0
		.amdhsa_exception_fp_ieee_div_zero 0
		.amdhsa_exception_fp_ieee_overflow 0
		.amdhsa_exception_fp_ieee_underflow 0
		.amdhsa_exception_fp_ieee_inexact 0
		.amdhsa_exception_int_div_zero 0
	.end_amdhsa_kernel
	.section	.text._ZN9rocsparseL49gtsv_nopivot_strided_batch_pcr_pow2_shared_kernelILj4EdEEviiiPKT0_S3_S3_PS1_,"axG",@progbits,_ZN9rocsparseL49gtsv_nopivot_strided_batch_pcr_pow2_shared_kernelILj4EdEEviiiPKT0_S3_S3_PS1_,comdat
.Lfunc_end22:
	.size	_ZN9rocsparseL49gtsv_nopivot_strided_batch_pcr_pow2_shared_kernelILj4EdEEviiiPKT0_S3_S3_PS1_, .Lfunc_end22-_ZN9rocsparseL49gtsv_nopivot_strided_batch_pcr_pow2_shared_kernelILj4EdEEviiiPKT0_S3_S3_PS1_
                                        ; -- End function
	.section	.AMDGPU.csdata,"",@progbits
; Kernel info:
; codeLenInByte = 740
; NumSgprs: 20
; NumVgprs: 44
; NumAgprs: 0
; TotalNumVgprs: 44
; ScratchSize: 0
; MemoryBound: 1
; FloatMode: 240
; IeeeMode: 1
; LDSByteSize: 232 bytes/workgroup (compile time only)
; SGPRBlocks: 2
; VGPRBlocks: 5
; NumSGPRsForWavesPerEU: 20
; NumVGPRsForWavesPerEU: 44
; AccumOffset: 44
; Occupancy: 8
; WaveLimiterHint : 1
; COMPUTE_PGM_RSRC2:SCRATCH_EN: 0
; COMPUTE_PGM_RSRC2:USER_SGPR: 6
; COMPUTE_PGM_RSRC2:TRAP_HANDLER: 0
; COMPUTE_PGM_RSRC2:TGID_X_EN: 1
; COMPUTE_PGM_RSRC2:TGID_Y_EN: 0
; COMPUTE_PGM_RSRC2:TGID_Z_EN: 0
; COMPUTE_PGM_RSRC2:TIDIG_COMP_CNT: 0
; COMPUTE_PGM_RSRC3_GFX90A:ACCUM_OFFSET: 10
; COMPUTE_PGM_RSRC3_GFX90A:TG_SPLIT: 0
	.section	.text._ZN9rocsparseL49gtsv_nopivot_strided_batch_pcr_pow2_shared_kernelILj8EdEEviiiPKT0_S3_S3_PS1_,"axG",@progbits,_ZN9rocsparseL49gtsv_nopivot_strided_batch_pcr_pow2_shared_kernelILj8EdEEviiiPKT0_S3_S3_PS1_,comdat
	.globl	_ZN9rocsparseL49gtsv_nopivot_strided_batch_pcr_pow2_shared_kernelILj8EdEEviiiPKT0_S3_S3_PS1_ ; -- Begin function _ZN9rocsparseL49gtsv_nopivot_strided_batch_pcr_pow2_shared_kernelILj8EdEEviiiPKT0_S3_S3_PS1_
	.p2align	8
	.type	_ZN9rocsparseL49gtsv_nopivot_strided_batch_pcr_pow2_shared_kernelILj8EdEEviiiPKT0_S3_S3_PS1_,@function
_ZN9rocsparseL49gtsv_nopivot_strided_batch_pcr_pow2_shared_kernelILj8EdEEviiiPKT0_S3_S3_PS1_: ; @_ZN9rocsparseL49gtsv_nopivot_strided_batch_pcr_pow2_shared_kernelILj8EdEEviiiPKT0_S3_S3_PS1_
; %bb.0:
	s_load_dword s0, s[4:5], 0x8
	s_load_dwordx8 s[8:15], s[4:5], 0x10
	v_max_u32_e32 v13, 1, v0
	v_min_u32_e32 v12, 6, v0
	v_lshlrev_b32_e32 v24, 3, v13
	s_waitcnt lgkmcnt(0)
	s_mul_i32 s6, s6, s0
	v_add_u32_e32 v2, s6, v0
	v_ashrrev_i32_e32 v3, 31, v2
	v_lshlrev_b64 v[2:3], 3, v[2:3]
	v_mov_b32_e32 v1, s9
	v_add_co_u32_e32 v4, vcc, s8, v2
	v_addc_co_u32_e32 v5, vcc, v1, v3, vcc
	v_mov_b32_e32 v1, s11
	v_add_co_u32_e32 v6, vcc, s10, v2
	v_addc_co_u32_e32 v7, vcc, v1, v3, vcc
	;; [unrolled: 3-line block ×3, first 2 shown]
	v_mov_b32_e32 v1, s15
	v_add_co_u32_e32 v2, vcc, s14, v2
	global_load_dwordx2 v[4:5], v[4:5], off
	v_addc_co_u32_e32 v3, vcc, v1, v3, vcc
	global_load_dwordx2 v[6:7], v[6:7], off
	v_lshlrev_b32_e32 v1, 3, v0
	global_load_dwordx2 v[8:9], v[8:9], off
	v_min_u32_e32 v14, 5, v0
	global_load_dwordx2 v[10:11], v[2:3], off
	v_max_u32_e32 v15, 2, v0
	v_lshlrev_b32_e32 v20, 3, v12
	v_add_u32_e32 v26, -8, v24
	v_lshlrev_b32_e32 v44, 3, v15
	v_lshlrev_b32_e32 v45, 3, v14
	v_add_u32_e32 v46, -16, v44
	s_waitcnt vmcnt(2)
	ds_write2_b64 v1, v[4:5], v[6:7] offset1:10
	s_waitcnt vmcnt(0)
	ds_write2_b64 v1, v[8:9], v[10:11] offset0:20 offset1:40
	s_waitcnt lgkmcnt(0)
	; wave barrier
	s_waitcnt lgkmcnt(0)
	ds_read2_b64 v[4:7], v1 offset1:10
	ds_read2_b64 v[8:11], v24 offset0:9 offset1:19
	ds_read2_b64 v[12:15], v1 offset0:20 offset1:40
	;; [unrolled: 1-line block ×4, first 2 shown]
	ds_read_b64 v[24:25], v24 offset:312
	ds_read_b64 v[26:27], v26
	s_waitcnt lgkmcnt(5)
	v_div_scale_f64 v[28:29], s[0:1], v[8:9], v[8:9], v[4:5]
	s_waitcnt lgkmcnt(3)
	v_div_scale_f64 v[32:33], s[0:1], v[18:19], v[18:19], v[12:13]
	v_rcp_f64_e32 v[34:35], v[28:29]
	v_rcp_f64_e32 v[36:37], v[32:33]
	v_div_scale_f64 v[30:31], vcc, v[4:5], v[8:9], v[4:5]
	v_fma_f64 v[40:41], -v[28:29], v[34:35], 1.0
	v_fma_f64 v[42:43], -v[32:33], v[36:37], 1.0
	v_fmac_f64_e32 v[34:35], v[34:35], v[40:41]
	v_fmac_f64_e32 v[36:37], v[36:37], v[42:43]
	v_fma_f64 v[40:41], -v[28:29], v[34:35], 1.0
	v_fma_f64 v[42:43], -v[32:33], v[36:37], 1.0
	v_fmac_f64_e32 v[34:35], v[34:35], v[40:41]
	v_div_scale_f64 v[38:39], s[0:1], v[12:13], v[18:19], v[12:13]
	v_fmac_f64_e32 v[36:37], v[36:37], v[42:43]
	v_mul_f64 v[40:41], v[30:31], v[34:35]
	v_mul_f64 v[42:43], v[38:39], v[36:37]
	v_fma_f64 v[28:29], -v[28:29], v[40:41], v[30:31]
	v_fma_f64 v[30:31], -v[32:33], v[42:43], v[38:39]
	v_div_fmas_f64 v[28:29], v[28:29], v[34:35], v[40:41]
	s_mov_b64 vcc, s[0:1]
	v_div_fixup_f64 v[4:5], v[28:29], v[8:9], v[4:5]
	v_div_fmas_f64 v[8:9], v[30:31], v[36:37], v[42:43]
	v_div_fixup_f64 v[8:9], v[8:9], v[18:19], v[12:13]
	v_fma_f64 v[6:7], -v[4:5], v[10:11], v[6:7]
	s_waitcnt lgkmcnt(1)
	v_fma_f64 v[10:11], -v[4:5], v[24:25], v[14:15]
	s_waitcnt lgkmcnt(0)
	v_mul_f64 v[4:5], v[4:5], -v[26:27]
	v_fma_f64 v[6:7], -v[8:9], v[16:17], v[6:7]
	v_fma_f64 v[10:11], -v[8:9], v[22:23], v[10:11]
	v_mul_f64 v[8:9], v[8:9], -v[20:21]
	s_waitcnt lgkmcnt(0)
	; wave barrier
	ds_write2_b64 v1, v[4:5], v[6:7] offset1:10
	ds_write2_b64 v1, v[8:9], v[10:11] offset0:20 offset1:40
	s_waitcnt lgkmcnt(0)
	; wave barrier
	s_waitcnt lgkmcnt(0)
	ds_read2_b64 v[4:7], v1 offset1:10
	ds_read2_b64 v[8:11], v44 offset0:8 offset1:18
	ds_read2_b64 v[12:15], v1 offset0:20 offset1:40
	;; [unrolled: 1-line block ×4, first 2 shown]
	ds_read_b64 v[24:25], v44 offset:304
	ds_read_b64 v[26:27], v46
	s_waitcnt lgkmcnt(5)
	v_div_scale_f64 v[28:29], s[0:1], v[8:9], v[8:9], v[4:5]
	s_waitcnt lgkmcnt(3)
	v_div_scale_f64 v[32:33], s[0:1], v[18:19], v[18:19], v[12:13]
	v_rcp_f64_e32 v[34:35], v[28:29]
	v_rcp_f64_e32 v[36:37], v[32:33]
	v_div_scale_f64 v[30:31], vcc, v[4:5], v[8:9], v[4:5]
	v_fma_f64 v[40:41], -v[28:29], v[34:35], 1.0
	v_fma_f64 v[42:43], -v[32:33], v[36:37], 1.0
	v_fmac_f64_e32 v[34:35], v[34:35], v[40:41]
	v_fmac_f64_e32 v[36:37], v[36:37], v[42:43]
	v_fma_f64 v[40:41], -v[28:29], v[34:35], 1.0
	v_fma_f64 v[42:43], -v[32:33], v[36:37], 1.0
	v_fmac_f64_e32 v[34:35], v[34:35], v[40:41]
	v_div_scale_f64 v[38:39], s[0:1], v[12:13], v[18:19], v[12:13]
	v_fmac_f64_e32 v[36:37], v[36:37], v[42:43]
	v_mul_f64 v[40:41], v[30:31], v[34:35]
	v_mul_f64 v[42:43], v[38:39], v[36:37]
	v_fma_f64 v[28:29], -v[28:29], v[40:41], v[30:31]
	v_fma_f64 v[30:31], -v[32:33], v[42:43], v[38:39]
	v_div_fmas_f64 v[28:29], v[28:29], v[34:35], v[40:41]
	s_mov_b64 vcc, s[0:1]
	v_div_fixup_f64 v[4:5], v[28:29], v[8:9], v[4:5]
	v_div_fmas_f64 v[8:9], v[30:31], v[36:37], v[42:43]
	v_div_fixup_f64 v[8:9], v[8:9], v[18:19], v[12:13]
	v_fma_f64 v[6:7], -v[4:5], v[10:11], v[6:7]
	v_fma_f64 v[6:7], -v[8:9], v[16:17], v[6:7]
	s_waitcnt lgkmcnt(1)
	v_fma_f64 v[10:11], -v[4:5], v[24:25], v[14:15]
	s_waitcnt lgkmcnt(0)
	v_mul_f64 v[4:5], v[4:5], -v[26:27]
	v_cmp_gt_u32_e32 vcc, 4, v0
	v_fma_f64 v[10:11], -v[8:9], v[22:23], v[10:11]
	v_mul_f64 v[8:9], v[8:9], -v[20:21]
	s_waitcnt lgkmcnt(0)
	; wave barrier
	ds_write2_b64 v1, v[4:5], v[6:7] offset1:10
	ds_write2_b64 v1, v[8:9], v[10:11] offset0:20 offset1:40
	s_waitcnt lgkmcnt(0)
	; wave barrier
	s_waitcnt lgkmcnt(0)
	s_and_saveexec_b64 s[0:1], vcc
	s_cbranch_execz .LBB23_2
; %bb.1:
	v_add_u32_e32 v4, 0xa0, v1
	v_add_u32_e32 v0, 0x50, v1
	ds_read_b64 v[12:13], v4
	ds_read_b64 v[14:15], v1 offset:32
	ds_read2_b64 v[4:7], v0 offset1:4
	v_or_b32_e32 v0, 0x140, v1
	s_waitcnt lgkmcnt(1)
	v_mul_f64 v[8:9], v[12:13], v[14:15]
	s_waitcnt lgkmcnt(0)
	v_fma_f64 v[16:17], v[6:7], v[4:5], -v[8:9]
	v_div_scale_f64 v[18:19], s[2:3], v[16:17], v[16:17], 1.0
	v_rcp_f64_e32 v[20:21], v[18:19]
	v_div_scale_f64 v[22:23], vcc, 1.0, v[16:17], 1.0
	v_fma_f64 v[8:9], -v[18:19], v[20:21], 1.0
	v_fmac_f64_e32 v[20:21], v[20:21], v[8:9]
	v_fma_f64 v[8:9], -v[18:19], v[20:21], 1.0
	v_fmac_f64_e32 v[20:21], v[20:21], v[8:9]
	ds_read2_b64 v[8:11], v0 offset1:4
	v_mul_f64 v[24:25], v[22:23], v[20:21]
	v_fma_f64 v[18:19], -v[18:19], v[24:25], v[22:23]
	v_div_fmas_f64 v[18:19], v[18:19], v[20:21], v[24:25]
	v_div_fixup_f64 v[16:17], v[18:19], v[16:17], 1.0
	s_waitcnt lgkmcnt(0)
	v_mul_f64 v[12:13], v[12:13], v[10:11]
	v_fma_f64 v[6:7], v[6:7], v[8:9], -v[12:13]
	v_mul_f64 v[8:9], v[14:15], v[8:9]
	v_fma_f64 v[4:5], v[4:5], v[10:11], -v[8:9]
	v_mul_f64 v[6:7], v[16:17], v[6:7]
	v_mul_f64 v[4:5], v[16:17], v[4:5]
	ds_write2_b64 v1, v[6:7], v[4:5] offset0:30 offset1:34
.LBB23_2:
	s_or_b64 exec, exec, s[0:1]
	s_waitcnt lgkmcnt(0)
	; wave barrier
	s_waitcnt lgkmcnt(0)
	ds_read_b64 v[0:1], v1 offset:240
	s_waitcnt lgkmcnt(0)
	global_store_dwordx2 v[2:3], v[0:1], off
	s_endpgm
	.section	.rodata,"a",@progbits
	.p2align	6, 0x0
	.amdhsa_kernel _ZN9rocsparseL49gtsv_nopivot_strided_batch_pcr_pow2_shared_kernelILj8EdEEviiiPKT0_S3_S3_PS1_
		.amdhsa_group_segment_fixed_size 392
		.amdhsa_private_segment_fixed_size 0
		.amdhsa_kernarg_size 48
		.amdhsa_user_sgpr_count 6
		.amdhsa_user_sgpr_private_segment_buffer 1
		.amdhsa_user_sgpr_dispatch_ptr 0
		.amdhsa_user_sgpr_queue_ptr 0
		.amdhsa_user_sgpr_kernarg_segment_ptr 1
		.amdhsa_user_sgpr_dispatch_id 0
		.amdhsa_user_sgpr_flat_scratch_init 0
		.amdhsa_user_sgpr_kernarg_preload_length 0
		.amdhsa_user_sgpr_kernarg_preload_offset 0
		.amdhsa_user_sgpr_private_segment_size 0
		.amdhsa_uses_dynamic_stack 0
		.amdhsa_system_sgpr_private_segment_wavefront_offset 0
		.amdhsa_system_sgpr_workgroup_id_x 1
		.amdhsa_system_sgpr_workgroup_id_y 0
		.amdhsa_system_sgpr_workgroup_id_z 0
		.amdhsa_system_sgpr_workgroup_info 0
		.amdhsa_system_vgpr_workitem_id 0
		.amdhsa_next_free_vgpr 47
		.amdhsa_next_free_sgpr 16
		.amdhsa_accum_offset 48
		.amdhsa_reserve_vcc 1
		.amdhsa_reserve_flat_scratch 0
		.amdhsa_float_round_mode_32 0
		.amdhsa_float_round_mode_16_64 0
		.amdhsa_float_denorm_mode_32 3
		.amdhsa_float_denorm_mode_16_64 3
		.amdhsa_dx10_clamp 1
		.amdhsa_ieee_mode 1
		.amdhsa_fp16_overflow 0
		.amdhsa_tg_split 0
		.amdhsa_exception_fp_ieee_invalid_op 0
		.amdhsa_exception_fp_denorm_src 0
		.amdhsa_exception_fp_ieee_div_zero 0
		.amdhsa_exception_fp_ieee_overflow 0
		.amdhsa_exception_fp_ieee_underflow 0
		.amdhsa_exception_fp_ieee_inexact 0
		.amdhsa_exception_int_div_zero 0
	.end_amdhsa_kernel
	.section	.text._ZN9rocsparseL49gtsv_nopivot_strided_batch_pcr_pow2_shared_kernelILj8EdEEviiiPKT0_S3_S3_PS1_,"axG",@progbits,_ZN9rocsparseL49gtsv_nopivot_strided_batch_pcr_pow2_shared_kernelILj8EdEEviiiPKT0_S3_S3_PS1_,comdat
.Lfunc_end23:
	.size	_ZN9rocsparseL49gtsv_nopivot_strided_batch_pcr_pow2_shared_kernelILj8EdEEviiiPKT0_S3_S3_PS1_, .Lfunc_end23-_ZN9rocsparseL49gtsv_nopivot_strided_batch_pcr_pow2_shared_kernelILj8EdEEviiiPKT0_S3_S3_PS1_
                                        ; -- End function
	.section	.AMDGPU.csdata,"",@progbits
; Kernel info:
; codeLenInByte = 1068
; NumSgprs: 20
; NumVgprs: 47
; NumAgprs: 0
; TotalNumVgprs: 47
; ScratchSize: 0
; MemoryBound: 1
; FloatMode: 240
; IeeeMode: 1
; LDSByteSize: 392 bytes/workgroup (compile time only)
; SGPRBlocks: 2
; VGPRBlocks: 5
; NumSGPRsForWavesPerEU: 20
; NumVGPRsForWavesPerEU: 47
; AccumOffset: 48
; Occupancy: 8
; WaveLimiterHint : 1
; COMPUTE_PGM_RSRC2:SCRATCH_EN: 0
; COMPUTE_PGM_RSRC2:USER_SGPR: 6
; COMPUTE_PGM_RSRC2:TRAP_HANDLER: 0
; COMPUTE_PGM_RSRC2:TGID_X_EN: 1
; COMPUTE_PGM_RSRC2:TGID_Y_EN: 0
; COMPUTE_PGM_RSRC2:TGID_Z_EN: 0
; COMPUTE_PGM_RSRC2:TIDIG_COMP_CNT: 0
; COMPUTE_PGM_RSRC3_GFX90A:ACCUM_OFFSET: 11
; COMPUTE_PGM_RSRC3_GFX90A:TG_SPLIT: 0
	.section	.text._ZN9rocsparseL49gtsv_nopivot_strided_batch_pcr_pow2_shared_kernelILj16EdEEviiiPKT0_S3_S3_PS1_,"axG",@progbits,_ZN9rocsparseL49gtsv_nopivot_strided_batch_pcr_pow2_shared_kernelILj16EdEEviiiPKT0_S3_S3_PS1_,comdat
	.globl	_ZN9rocsparseL49gtsv_nopivot_strided_batch_pcr_pow2_shared_kernelILj16EdEEviiiPKT0_S3_S3_PS1_ ; -- Begin function _ZN9rocsparseL49gtsv_nopivot_strided_batch_pcr_pow2_shared_kernelILj16EdEEviiiPKT0_S3_S3_PS1_
	.p2align	8
	.type	_ZN9rocsparseL49gtsv_nopivot_strided_batch_pcr_pow2_shared_kernelILj16EdEEviiiPKT0_S3_S3_PS1_,@function
_ZN9rocsparseL49gtsv_nopivot_strided_batch_pcr_pow2_shared_kernelILj16EdEEviiiPKT0_S3_S3_PS1_: ; @_ZN9rocsparseL49gtsv_nopivot_strided_batch_pcr_pow2_shared_kernelILj16EdEEviiiPKT0_S3_S3_PS1_
; %bb.0:
	s_load_dword s0, s[4:5], 0x8
	s_load_dwordx8 s[8:15], s[4:5], 0x10
	v_max_u32_e32 v13, 1, v0
	v_min_u32_e32 v12, 14, v0
	v_lshlrev_b32_e32 v24, 3, v13
	s_waitcnt lgkmcnt(0)
	s_mul_i32 s6, s6, s0
	v_add_u32_e32 v2, s6, v0
	v_ashrrev_i32_e32 v3, 31, v2
	v_lshlrev_b64 v[2:3], 3, v[2:3]
	v_mov_b32_e32 v1, s9
	v_add_co_u32_e32 v4, vcc, s8, v2
	v_addc_co_u32_e32 v5, vcc, v1, v3, vcc
	v_mov_b32_e32 v1, s11
	v_add_co_u32_e32 v6, vcc, s10, v2
	v_addc_co_u32_e32 v7, vcc, v1, v3, vcc
	;; [unrolled: 3-line block ×3, first 2 shown]
	v_mov_b32_e32 v1, s15
	v_add_co_u32_e32 v2, vcc, s14, v2
	global_load_dwordx2 v[4:5], v[4:5], off
	v_addc_co_u32_e32 v3, vcc, v1, v3, vcc
	global_load_dwordx2 v[6:7], v[6:7], off
	v_lshlrev_b32_e32 v1, 3, v0
	global_load_dwordx2 v[8:9], v[8:9], off
	v_min_u32_e32 v14, 13, v0
	global_load_dwordx2 v[10:11], v[2:3], off
	v_max_u32_e32 v15, 2, v0
	v_lshlrev_b32_e32 v20, 3, v12
	v_add_u32_e32 v26, -8, v24
	v_lshlrev_b32_e32 v44, 3, v15
	v_lshlrev_b32_e32 v45, 3, v14
	v_add_u32_e32 v46, -16, v44
	s_waitcnt vmcnt(2)
	ds_write2_b64 v1, v[4:5], v[6:7] offset1:18
	s_waitcnt vmcnt(0)
	ds_write2_b64 v1, v[8:9], v[10:11] offset0:36 offset1:72
	s_waitcnt lgkmcnt(0)
	; wave barrier
	s_waitcnt lgkmcnt(0)
	ds_read2_b64 v[4:7], v1 offset1:18
	ds_read2_b64 v[8:11], v24 offset0:17 offset1:35
	ds_read2_b64 v[12:15], v1 offset0:36 offset1:72
	;; [unrolled: 1-line block ×4, first 2 shown]
	ds_read_b64 v[24:25], v24 offset:568
	ds_read_b64 v[26:27], v26
	s_waitcnt lgkmcnt(5)
	v_div_scale_f64 v[28:29], s[0:1], v[8:9], v[8:9], v[4:5]
	s_waitcnt lgkmcnt(3)
	v_div_scale_f64 v[32:33], s[0:1], v[18:19], v[18:19], v[12:13]
	v_rcp_f64_e32 v[34:35], v[28:29]
	v_rcp_f64_e32 v[36:37], v[32:33]
	v_div_scale_f64 v[30:31], vcc, v[4:5], v[8:9], v[4:5]
	v_fma_f64 v[40:41], -v[28:29], v[34:35], 1.0
	v_fma_f64 v[42:43], -v[32:33], v[36:37], 1.0
	v_fmac_f64_e32 v[34:35], v[34:35], v[40:41]
	v_fmac_f64_e32 v[36:37], v[36:37], v[42:43]
	v_fma_f64 v[40:41], -v[28:29], v[34:35], 1.0
	v_fma_f64 v[42:43], -v[32:33], v[36:37], 1.0
	v_fmac_f64_e32 v[34:35], v[34:35], v[40:41]
	v_div_scale_f64 v[38:39], s[0:1], v[12:13], v[18:19], v[12:13]
	v_fmac_f64_e32 v[36:37], v[36:37], v[42:43]
	v_mul_f64 v[40:41], v[30:31], v[34:35]
	v_mul_f64 v[42:43], v[38:39], v[36:37]
	v_fma_f64 v[28:29], -v[28:29], v[40:41], v[30:31]
	v_fma_f64 v[30:31], -v[32:33], v[42:43], v[38:39]
	v_div_fmas_f64 v[28:29], v[28:29], v[34:35], v[40:41]
	s_mov_b64 vcc, s[0:1]
	v_div_fixup_f64 v[4:5], v[28:29], v[8:9], v[4:5]
	v_div_fmas_f64 v[8:9], v[30:31], v[36:37], v[42:43]
	v_div_fixup_f64 v[8:9], v[8:9], v[18:19], v[12:13]
	v_fma_f64 v[6:7], -v[4:5], v[10:11], v[6:7]
	s_waitcnt lgkmcnt(1)
	v_fma_f64 v[10:11], -v[4:5], v[24:25], v[14:15]
	s_waitcnt lgkmcnt(0)
	v_mul_f64 v[4:5], v[4:5], -v[26:27]
	v_fma_f64 v[6:7], -v[8:9], v[16:17], v[6:7]
	v_fma_f64 v[10:11], -v[8:9], v[22:23], v[10:11]
	v_mul_f64 v[8:9], v[8:9], -v[20:21]
	s_waitcnt lgkmcnt(0)
	; wave barrier
	ds_write2_b64 v1, v[4:5], v[6:7] offset1:18
	ds_write2_b64 v1, v[8:9], v[10:11] offset0:36 offset1:72
	s_waitcnt lgkmcnt(0)
	; wave barrier
	s_waitcnt lgkmcnt(0)
	ds_read2_b64 v[4:7], v1 offset1:18
	ds_read2_b64 v[8:11], v44 offset0:16 offset1:34
	ds_read2_b64 v[12:15], v1 offset0:36 offset1:72
	;; [unrolled: 1-line block ×4, first 2 shown]
	ds_read_b64 v[24:25], v44 offset:560
	ds_read_b64 v[26:27], v46
	s_waitcnt lgkmcnt(5)
	v_div_scale_f64 v[28:29], s[0:1], v[8:9], v[8:9], v[4:5]
	s_waitcnt lgkmcnt(3)
	v_div_scale_f64 v[32:33], s[0:1], v[18:19], v[18:19], v[12:13]
	v_rcp_f64_e32 v[34:35], v[28:29]
	v_rcp_f64_e32 v[36:37], v[32:33]
	v_div_scale_f64 v[30:31], vcc, v[4:5], v[8:9], v[4:5]
	v_fma_f64 v[40:41], -v[28:29], v[34:35], 1.0
	v_fma_f64 v[42:43], -v[32:33], v[36:37], 1.0
	v_fmac_f64_e32 v[34:35], v[34:35], v[40:41]
	v_fmac_f64_e32 v[36:37], v[36:37], v[42:43]
	v_fma_f64 v[40:41], -v[28:29], v[34:35], 1.0
	v_fma_f64 v[42:43], -v[32:33], v[36:37], 1.0
	v_fmac_f64_e32 v[34:35], v[34:35], v[40:41]
	v_div_scale_f64 v[38:39], s[0:1], v[12:13], v[18:19], v[12:13]
	v_fmac_f64_e32 v[36:37], v[36:37], v[42:43]
	v_mul_f64 v[40:41], v[30:31], v[34:35]
	v_mul_f64 v[42:43], v[38:39], v[36:37]
	v_fma_f64 v[28:29], -v[28:29], v[40:41], v[30:31]
	v_fma_f64 v[30:31], -v[32:33], v[42:43], v[38:39]
	v_div_fmas_f64 v[28:29], v[28:29], v[34:35], v[40:41]
	s_mov_b64 vcc, s[0:1]
	v_div_fixup_f64 v[4:5], v[28:29], v[8:9], v[4:5]
	v_div_fmas_f64 v[8:9], v[30:31], v[36:37], v[42:43]
	v_div_fixup_f64 v[8:9], v[8:9], v[18:19], v[12:13]
	v_fma_f64 v[6:7], -v[4:5], v[10:11], v[6:7]
	v_fma_f64 v[6:7], -v[8:9], v[16:17], v[6:7]
	s_waitcnt lgkmcnt(1)
	v_fma_f64 v[10:11], -v[4:5], v[24:25], v[14:15]
	s_waitcnt lgkmcnt(0)
	v_mul_f64 v[4:5], v[4:5], -v[26:27]
	v_fma_f64 v[10:11], -v[8:9], v[22:23], v[10:11]
	v_mul_f64 v[8:9], v[8:9], -v[20:21]
	s_waitcnt lgkmcnt(0)
	; wave barrier
	ds_write2_b64 v1, v[4:5], v[6:7] offset1:18
	ds_write2_b64 v1, v[8:9], v[10:11] offset0:36 offset1:72
	v_max_u32_e32 v4, 4, v0
	s_waitcnt lgkmcnt(0)
	; wave barrier
	s_waitcnt lgkmcnt(0)
	v_lshlrev_b32_e32 v30, 3, v4
	ds_read2_b64 v[4:7], v1 offset1:18
	ds_read2_b64 v[8:11], v30 offset0:14 offset1:32
	v_min_u32_e32 v16, 11, v0
	v_lshlrev_b32_e32 v32, 3, v16
	ds_read2_b64 v[16:19], v32 offset0:4 offset1:22
	v_subrev_u32_e32 v31, 32, v30
	s_waitcnt lgkmcnt(1)
	v_div_scale_f64 v[20:21], s[0:1], v[8:9], v[8:9], v[4:5]
	v_rcp_f64_e32 v[22:23], v[20:21]
	v_div_scale_f64 v[24:25], vcc, v[4:5], v[8:9], v[4:5]
	v_fma_f64 v[12:13], -v[20:21], v[22:23], 1.0
	v_fmac_f64_e32 v[22:23], v[22:23], v[12:13]
	v_fma_f64 v[12:13], -v[20:21], v[22:23], 1.0
	v_fmac_f64_e32 v[22:23], v[22:23], v[12:13]
	ds_read2_b64 v[12:15], v1 offset0:36 offset1:72
	v_mul_f64 v[26:27], v[24:25], v[22:23]
	v_fma_f64 v[20:21], -v[20:21], v[26:27], v[24:25]
	v_div_fmas_f64 v[20:21], v[20:21], v[22:23], v[26:27]
	v_div_fixup_f64 v[4:5], v[20:21], v[8:9], v[4:5]
	s_waitcnt lgkmcnt(0)
	v_div_scale_f64 v[24:25], s[0:1], v[18:19], v[18:19], v[12:13]
	v_rcp_f64_e32 v[28:29], v[24:25]
	v_fma_f64 v[6:7], -v[4:5], v[10:11], v[6:7]
	v_fma_f64 v[8:9], -v[24:25], v[28:29], 1.0
	v_fmac_f64_e32 v[28:29], v[28:29], v[8:9]
	v_fma_f64 v[8:9], -v[24:25], v[28:29], 1.0
	v_fmac_f64_e32 v[28:29], v[28:29], v[8:9]
	v_div_scale_f64 v[8:9], vcc, v[12:13], v[18:19], v[12:13]
	v_mul_f64 v[20:21], v[8:9], v[28:29]
	v_fma_f64 v[8:9], -v[24:25], v[20:21], v[8:9]
	s_nop 1
	v_div_fmas_f64 v[8:9], v[8:9], v[28:29], v[20:21]
	v_div_fixup_f64 v[8:9], v[8:9], v[18:19], v[12:13]
	ds_read_b64 v[12:13], v30 offset:544
	ds_read2_b64 v[18:21], v32 offset0:40 offset1:76
	ds_read_b64 v[22:23], v31
	v_fma_f64 v[6:7], -v[8:9], v[16:17], v[6:7]
	v_cmp_gt_u32_e32 vcc, 8, v0
	s_waitcnt lgkmcnt(2)
	v_fma_f64 v[10:11], -v[4:5], v[12:13], v[14:15]
	s_waitcnt lgkmcnt(1)
	v_fma_f64 v[10:11], -v[8:9], v[20:21], v[10:11]
	s_waitcnt lgkmcnt(0)
	v_mul_f64 v[4:5], v[4:5], -v[22:23]
	v_mul_f64 v[8:9], v[8:9], -v[18:19]
	s_waitcnt lgkmcnt(0)
	; wave barrier
	ds_write2_b64 v1, v[4:5], v[6:7] offset1:18
	ds_write2_b64 v1, v[8:9], v[10:11] offset0:36 offset1:72
	s_waitcnt lgkmcnt(0)
	; wave barrier
	s_waitcnt lgkmcnt(0)
	s_and_saveexec_b64 s[0:1], vcc
	s_cbranch_execz .LBB24_2
; %bb.1:
	v_add_u32_e32 v4, 0x120, v1
	v_add_u32_e32 v0, 0x90, v1
	ds_read_b64 v[12:13], v4
	ds_read_b64 v[14:15], v1 offset:64
	ds_read2_b64 v[4:7], v0 offset1:8
	v_add_u32_e32 v0, 0x240, v1
	s_waitcnt lgkmcnt(1)
	v_mul_f64 v[8:9], v[12:13], v[14:15]
	s_waitcnt lgkmcnt(0)
	v_fma_f64 v[16:17], v[6:7], v[4:5], -v[8:9]
	v_div_scale_f64 v[18:19], s[2:3], v[16:17], v[16:17], 1.0
	v_rcp_f64_e32 v[20:21], v[18:19]
	v_div_scale_f64 v[22:23], vcc, 1.0, v[16:17], 1.0
	v_fma_f64 v[8:9], -v[18:19], v[20:21], 1.0
	v_fmac_f64_e32 v[20:21], v[20:21], v[8:9]
	v_fma_f64 v[8:9], -v[18:19], v[20:21], 1.0
	v_fmac_f64_e32 v[20:21], v[20:21], v[8:9]
	ds_read2_b64 v[8:11], v0 offset1:8
	v_mul_f64 v[24:25], v[22:23], v[20:21]
	v_fma_f64 v[18:19], -v[18:19], v[24:25], v[22:23]
	v_div_fmas_f64 v[18:19], v[18:19], v[20:21], v[24:25]
	v_div_fixup_f64 v[16:17], v[18:19], v[16:17], 1.0
	s_waitcnt lgkmcnt(0)
	v_mul_f64 v[12:13], v[12:13], v[10:11]
	v_fma_f64 v[6:7], v[6:7], v[8:9], -v[12:13]
	v_mul_f64 v[8:9], v[14:15], v[8:9]
	v_fma_f64 v[4:5], v[4:5], v[10:11], -v[8:9]
	v_mul_f64 v[6:7], v[16:17], v[6:7]
	v_mul_f64 v[4:5], v[16:17], v[4:5]
	ds_write2_b64 v1, v[6:7], v[4:5] offset0:54 offset1:62
.LBB24_2:
	s_or_b64 exec, exec, s[0:1]
	s_waitcnt lgkmcnt(0)
	; wave barrier
	s_waitcnt lgkmcnt(0)
	ds_read_b64 v[0:1], v1 offset:432
	s_waitcnt lgkmcnt(0)
	global_store_dwordx2 v[2:3], v[0:1], off
	s_endpgm
	.section	.rodata,"a",@progbits
	.p2align	6, 0x0
	.amdhsa_kernel _ZN9rocsparseL49gtsv_nopivot_strided_batch_pcr_pow2_shared_kernelILj16EdEEviiiPKT0_S3_S3_PS1_
		.amdhsa_group_segment_fixed_size 712
		.amdhsa_private_segment_fixed_size 0
		.amdhsa_kernarg_size 48
		.amdhsa_user_sgpr_count 6
		.amdhsa_user_sgpr_private_segment_buffer 1
		.amdhsa_user_sgpr_dispatch_ptr 0
		.amdhsa_user_sgpr_queue_ptr 0
		.amdhsa_user_sgpr_kernarg_segment_ptr 1
		.amdhsa_user_sgpr_dispatch_id 0
		.amdhsa_user_sgpr_flat_scratch_init 0
		.amdhsa_user_sgpr_kernarg_preload_length 0
		.amdhsa_user_sgpr_kernarg_preload_offset 0
		.amdhsa_user_sgpr_private_segment_size 0
		.amdhsa_uses_dynamic_stack 0
		.amdhsa_system_sgpr_private_segment_wavefront_offset 0
		.amdhsa_system_sgpr_workgroup_id_x 1
		.amdhsa_system_sgpr_workgroup_id_y 0
		.amdhsa_system_sgpr_workgroup_id_z 0
		.amdhsa_system_sgpr_workgroup_info 0
		.amdhsa_system_vgpr_workitem_id 0
		.amdhsa_next_free_vgpr 47
		.amdhsa_next_free_sgpr 16
		.amdhsa_accum_offset 48
		.amdhsa_reserve_vcc 1
		.amdhsa_reserve_flat_scratch 0
		.amdhsa_float_round_mode_32 0
		.amdhsa_float_round_mode_16_64 0
		.amdhsa_float_denorm_mode_32 3
		.amdhsa_float_denorm_mode_16_64 3
		.amdhsa_dx10_clamp 1
		.amdhsa_ieee_mode 1
		.amdhsa_fp16_overflow 0
		.amdhsa_tg_split 0
		.amdhsa_exception_fp_ieee_invalid_op 0
		.amdhsa_exception_fp_denorm_src 0
		.amdhsa_exception_fp_ieee_div_zero 0
		.amdhsa_exception_fp_ieee_overflow 0
		.amdhsa_exception_fp_ieee_underflow 0
		.amdhsa_exception_fp_ieee_inexact 0
		.amdhsa_exception_int_div_zero 0
	.end_amdhsa_kernel
	.section	.text._ZN9rocsparseL49gtsv_nopivot_strided_batch_pcr_pow2_shared_kernelILj16EdEEviiiPKT0_S3_S3_PS1_,"axG",@progbits,_ZN9rocsparseL49gtsv_nopivot_strided_batch_pcr_pow2_shared_kernelILj16EdEEviiiPKT0_S3_S3_PS1_,comdat
.Lfunc_end24:
	.size	_ZN9rocsparseL49gtsv_nopivot_strided_batch_pcr_pow2_shared_kernelILj16EdEEviiiPKT0_S3_S3_PS1_, .Lfunc_end24-_ZN9rocsparseL49gtsv_nopivot_strided_batch_pcr_pow2_shared_kernelILj16EdEEviiiPKT0_S3_S3_PS1_
                                        ; -- End function
	.section	.AMDGPU.csdata,"",@progbits
; Kernel info:
; codeLenInByte = 1396
; NumSgprs: 20
; NumVgprs: 47
; NumAgprs: 0
; TotalNumVgprs: 47
; ScratchSize: 0
; MemoryBound: 1
; FloatMode: 240
; IeeeMode: 1
; LDSByteSize: 712 bytes/workgroup (compile time only)
; SGPRBlocks: 2
; VGPRBlocks: 5
; NumSGPRsForWavesPerEU: 20
; NumVGPRsForWavesPerEU: 47
; AccumOffset: 48
; Occupancy: 8
; WaveLimiterHint : 1
; COMPUTE_PGM_RSRC2:SCRATCH_EN: 0
; COMPUTE_PGM_RSRC2:USER_SGPR: 6
; COMPUTE_PGM_RSRC2:TRAP_HANDLER: 0
; COMPUTE_PGM_RSRC2:TGID_X_EN: 1
; COMPUTE_PGM_RSRC2:TGID_Y_EN: 0
; COMPUTE_PGM_RSRC2:TGID_Z_EN: 0
; COMPUTE_PGM_RSRC2:TIDIG_COMP_CNT: 0
; COMPUTE_PGM_RSRC3_GFX90A:ACCUM_OFFSET: 11
; COMPUTE_PGM_RSRC3_GFX90A:TG_SPLIT: 0
	.section	.text._ZN9rocsparseL49gtsv_nopivot_strided_batch_pcr_pow2_shared_kernelILj32EdEEviiiPKT0_S3_S3_PS1_,"axG",@progbits,_ZN9rocsparseL49gtsv_nopivot_strided_batch_pcr_pow2_shared_kernelILj32EdEEviiiPKT0_S3_S3_PS1_,comdat
	.globl	_ZN9rocsparseL49gtsv_nopivot_strided_batch_pcr_pow2_shared_kernelILj32EdEEviiiPKT0_S3_S3_PS1_ ; -- Begin function _ZN9rocsparseL49gtsv_nopivot_strided_batch_pcr_pow2_shared_kernelILj32EdEEviiiPKT0_S3_S3_PS1_
	.p2align	8
	.type	_ZN9rocsparseL49gtsv_nopivot_strided_batch_pcr_pow2_shared_kernelILj32EdEEviiiPKT0_S3_S3_PS1_,@function
_ZN9rocsparseL49gtsv_nopivot_strided_batch_pcr_pow2_shared_kernelILj32EdEEviiiPKT0_S3_S3_PS1_: ; @_ZN9rocsparseL49gtsv_nopivot_strided_batch_pcr_pow2_shared_kernelILj32EdEEviiiPKT0_S3_S3_PS1_
; %bb.0:
	s_load_dword s0, s[4:5], 0x8
	s_load_dwordx8 s[8:15], s[4:5], 0x10
	v_max_u32_e32 v13, 1, v0
	v_min_u32_e32 v12, 30, v0
	v_lshlrev_b32_e32 v24, 3, v13
	s_waitcnt lgkmcnt(0)
	s_mul_i32 s6, s6, s0
	v_add_u32_e32 v2, s6, v0
	v_ashrrev_i32_e32 v3, 31, v2
	v_lshlrev_b64 v[2:3], 3, v[2:3]
	v_mov_b32_e32 v1, s9
	v_add_co_u32_e32 v4, vcc, s8, v2
	v_addc_co_u32_e32 v5, vcc, v1, v3, vcc
	v_mov_b32_e32 v1, s11
	v_add_co_u32_e32 v6, vcc, s10, v2
	v_addc_co_u32_e32 v7, vcc, v1, v3, vcc
	;; [unrolled: 3-line block ×3, first 2 shown]
	v_mov_b32_e32 v1, s15
	v_add_co_u32_e32 v2, vcc, s14, v2
	global_load_dwordx2 v[4:5], v[4:5], off
	v_addc_co_u32_e32 v3, vcc, v1, v3, vcc
	global_load_dwordx2 v[6:7], v[6:7], off
	v_lshlrev_b32_e32 v1, 3, v0
	global_load_dwordx2 v[8:9], v[8:9], off
	v_min_u32_e32 v14, 29, v0
	global_load_dwordx2 v[10:11], v[2:3], off
	v_max_u32_e32 v15, 2, v0
	v_lshlrev_b32_e32 v20, 3, v12
	v_add_u32_e32 v26, -8, v24
	v_lshlrev_b32_e32 v44, 3, v15
	v_lshlrev_b32_e32 v45, 3, v14
	v_add_u32_e32 v46, -16, v44
	s_waitcnt vmcnt(2)
	ds_write2_b64 v1, v[4:5], v[6:7] offset1:34
	s_waitcnt vmcnt(0)
	ds_write2_b64 v1, v[8:9], v[10:11] offset0:68 offset1:136
	s_waitcnt lgkmcnt(0)
	; wave barrier
	s_waitcnt lgkmcnt(0)
	ds_read2_b64 v[4:7], v1 offset1:34
	ds_read2_b64 v[8:11], v24 offset0:33 offset1:67
	ds_read2_b64 v[12:15], v1 offset0:68 offset1:136
	;; [unrolled: 1-line block ×4, first 2 shown]
	ds_read_b64 v[24:25], v24 offset:1080
	ds_read_b64 v[26:27], v26
	s_waitcnt lgkmcnt(5)
	v_div_scale_f64 v[28:29], s[0:1], v[8:9], v[8:9], v[4:5]
	s_waitcnt lgkmcnt(3)
	v_div_scale_f64 v[32:33], s[0:1], v[18:19], v[18:19], v[12:13]
	v_rcp_f64_e32 v[34:35], v[28:29]
	v_rcp_f64_e32 v[36:37], v[32:33]
	v_div_scale_f64 v[30:31], vcc, v[4:5], v[8:9], v[4:5]
	v_fma_f64 v[40:41], -v[28:29], v[34:35], 1.0
	v_fma_f64 v[42:43], -v[32:33], v[36:37], 1.0
	v_fmac_f64_e32 v[34:35], v[34:35], v[40:41]
	v_fmac_f64_e32 v[36:37], v[36:37], v[42:43]
	v_fma_f64 v[40:41], -v[28:29], v[34:35], 1.0
	v_fma_f64 v[42:43], -v[32:33], v[36:37], 1.0
	v_fmac_f64_e32 v[34:35], v[34:35], v[40:41]
	v_div_scale_f64 v[38:39], s[0:1], v[12:13], v[18:19], v[12:13]
	v_fmac_f64_e32 v[36:37], v[36:37], v[42:43]
	v_mul_f64 v[40:41], v[30:31], v[34:35]
	v_mul_f64 v[42:43], v[38:39], v[36:37]
	v_fma_f64 v[28:29], -v[28:29], v[40:41], v[30:31]
	v_fma_f64 v[30:31], -v[32:33], v[42:43], v[38:39]
	v_div_fmas_f64 v[28:29], v[28:29], v[34:35], v[40:41]
	s_mov_b64 vcc, s[0:1]
	v_div_fixup_f64 v[4:5], v[28:29], v[8:9], v[4:5]
	v_div_fmas_f64 v[8:9], v[30:31], v[36:37], v[42:43]
	v_div_fixup_f64 v[8:9], v[8:9], v[18:19], v[12:13]
	v_fma_f64 v[6:7], -v[4:5], v[10:11], v[6:7]
	s_waitcnt lgkmcnt(1)
	v_fma_f64 v[10:11], -v[4:5], v[24:25], v[14:15]
	s_waitcnt lgkmcnt(0)
	v_mul_f64 v[4:5], v[4:5], -v[26:27]
	v_fma_f64 v[6:7], -v[8:9], v[16:17], v[6:7]
	v_fma_f64 v[10:11], -v[8:9], v[22:23], v[10:11]
	v_mul_f64 v[8:9], v[8:9], -v[20:21]
	s_waitcnt lgkmcnt(0)
	; wave barrier
	ds_write2_b64 v1, v[4:5], v[6:7] offset1:34
	ds_write2_b64 v1, v[8:9], v[10:11] offset0:68 offset1:136
	s_waitcnt lgkmcnt(0)
	; wave barrier
	s_waitcnt lgkmcnt(0)
	ds_read2_b64 v[4:7], v1 offset1:34
	ds_read2_b64 v[8:11], v44 offset0:32 offset1:66
	ds_read2_b64 v[12:15], v1 offset0:68 offset1:136
	;; [unrolled: 1-line block ×4, first 2 shown]
	ds_read_b64 v[24:25], v44 offset:1072
	ds_read_b64 v[26:27], v46
	s_waitcnt lgkmcnt(5)
	v_div_scale_f64 v[28:29], s[0:1], v[8:9], v[8:9], v[4:5]
	s_waitcnt lgkmcnt(3)
	v_div_scale_f64 v[32:33], s[0:1], v[18:19], v[18:19], v[12:13]
	v_rcp_f64_e32 v[34:35], v[28:29]
	v_rcp_f64_e32 v[36:37], v[32:33]
	v_div_scale_f64 v[30:31], vcc, v[4:5], v[8:9], v[4:5]
	v_fma_f64 v[40:41], -v[28:29], v[34:35], 1.0
	v_fma_f64 v[42:43], -v[32:33], v[36:37], 1.0
	v_fmac_f64_e32 v[34:35], v[34:35], v[40:41]
	v_fmac_f64_e32 v[36:37], v[36:37], v[42:43]
	v_fma_f64 v[40:41], -v[28:29], v[34:35], 1.0
	v_fma_f64 v[42:43], -v[32:33], v[36:37], 1.0
	v_fmac_f64_e32 v[34:35], v[34:35], v[40:41]
	v_div_scale_f64 v[38:39], s[0:1], v[12:13], v[18:19], v[12:13]
	v_fmac_f64_e32 v[36:37], v[36:37], v[42:43]
	v_mul_f64 v[40:41], v[30:31], v[34:35]
	v_mul_f64 v[42:43], v[38:39], v[36:37]
	v_fma_f64 v[28:29], -v[28:29], v[40:41], v[30:31]
	v_fma_f64 v[30:31], -v[32:33], v[42:43], v[38:39]
	v_div_fmas_f64 v[28:29], v[28:29], v[34:35], v[40:41]
	s_mov_b64 vcc, s[0:1]
	v_div_fixup_f64 v[4:5], v[28:29], v[8:9], v[4:5]
	v_div_fmas_f64 v[8:9], v[30:31], v[36:37], v[42:43]
	v_div_fixup_f64 v[8:9], v[8:9], v[18:19], v[12:13]
	v_fma_f64 v[6:7], -v[4:5], v[10:11], v[6:7]
	v_fma_f64 v[6:7], -v[8:9], v[16:17], v[6:7]
	s_waitcnt lgkmcnt(1)
	v_fma_f64 v[10:11], -v[4:5], v[24:25], v[14:15]
	s_waitcnt lgkmcnt(0)
	v_mul_f64 v[4:5], v[4:5], -v[26:27]
	v_fma_f64 v[10:11], -v[8:9], v[22:23], v[10:11]
	v_mul_f64 v[8:9], v[8:9], -v[20:21]
	s_waitcnt lgkmcnt(0)
	; wave barrier
	ds_write2_b64 v1, v[4:5], v[6:7] offset1:34
	ds_write2_b64 v1, v[8:9], v[10:11] offset0:68 offset1:136
	v_max_u32_e32 v4, 4, v0
	s_waitcnt lgkmcnt(0)
	; wave barrier
	s_waitcnt lgkmcnt(0)
	v_lshlrev_b32_e32 v30, 3, v4
	ds_read2_b64 v[4:7], v1 offset1:34
	ds_read2_b64 v[8:11], v30 offset0:30 offset1:64
	v_min_u32_e32 v16, 27, v0
	v_lshlrev_b32_e32 v32, 3, v16
	ds_read2_b64 v[16:19], v32 offset0:4 offset1:38
	v_subrev_u32_e32 v31, 32, v30
	s_waitcnt lgkmcnt(1)
	v_div_scale_f64 v[20:21], s[0:1], v[8:9], v[8:9], v[4:5]
	v_rcp_f64_e32 v[22:23], v[20:21]
	v_div_scale_f64 v[24:25], vcc, v[4:5], v[8:9], v[4:5]
	v_fma_f64 v[12:13], -v[20:21], v[22:23], 1.0
	v_fmac_f64_e32 v[22:23], v[22:23], v[12:13]
	v_fma_f64 v[12:13], -v[20:21], v[22:23], 1.0
	v_fmac_f64_e32 v[22:23], v[22:23], v[12:13]
	ds_read2_b64 v[12:15], v1 offset0:68 offset1:136
	v_mul_f64 v[26:27], v[24:25], v[22:23]
	v_fma_f64 v[20:21], -v[20:21], v[26:27], v[24:25]
	v_div_fmas_f64 v[20:21], v[20:21], v[22:23], v[26:27]
	v_div_fixup_f64 v[4:5], v[20:21], v[8:9], v[4:5]
	s_waitcnt lgkmcnt(0)
	v_div_scale_f64 v[24:25], s[0:1], v[18:19], v[18:19], v[12:13]
	v_rcp_f64_e32 v[28:29], v[24:25]
	v_fma_f64 v[6:7], -v[4:5], v[10:11], v[6:7]
	v_fma_f64 v[8:9], -v[24:25], v[28:29], 1.0
	v_fmac_f64_e32 v[28:29], v[28:29], v[8:9]
	v_fma_f64 v[8:9], -v[24:25], v[28:29], 1.0
	v_fmac_f64_e32 v[28:29], v[28:29], v[8:9]
	v_div_scale_f64 v[8:9], vcc, v[12:13], v[18:19], v[12:13]
	v_mul_f64 v[20:21], v[8:9], v[28:29]
	v_fma_f64 v[8:9], -v[24:25], v[20:21], v[8:9]
	s_nop 1
	v_div_fmas_f64 v[8:9], v[8:9], v[28:29], v[20:21]
	v_div_fixup_f64 v[8:9], v[8:9], v[18:19], v[12:13]
	ds_read_b64 v[12:13], v30 offset:1056
	ds_read2_b64 v[18:21], v32 offset0:72 offset1:140
	ds_read_b64 v[22:23], v31
	v_fma_f64 v[6:7], -v[8:9], v[16:17], v[6:7]
	s_waitcnt lgkmcnt(0)
	v_fma_f64 v[10:11], -v[4:5], v[12:13], v[14:15]
	v_fma_f64 v[10:11], -v[8:9], v[20:21], v[10:11]
	v_mul_f64 v[4:5], v[4:5], -v[22:23]
	v_mul_f64 v[8:9], v[8:9], -v[18:19]
	; wave barrier
	ds_write2_b64 v1, v[4:5], v[6:7] offset1:34
	ds_write2_b64 v1, v[8:9], v[10:11] offset0:68 offset1:136
	v_max_u32_e32 v4, 8, v0
	s_waitcnt lgkmcnt(0)
	; wave barrier
	s_waitcnt lgkmcnt(0)
	v_lshlrev_b32_e32 v30, 3, v4
	ds_read2_b64 v[4:7], v1 offset1:34
	ds_read2_b64 v[8:11], v30 offset0:26 offset1:60
	v_min_u32_e32 v16, 23, v0
	v_lshlrev_b32_e32 v32, 3, v16
	ds_read2_b64 v[16:19], v32 offset0:8 offset1:42
	v_subrev_u32_e32 v31, 64, v30
	s_waitcnt lgkmcnt(1)
	v_div_scale_f64 v[20:21], s[0:1], v[8:9], v[8:9], v[4:5]
	v_rcp_f64_e32 v[22:23], v[20:21]
	v_div_scale_f64 v[24:25], vcc, v[4:5], v[8:9], v[4:5]
	v_fma_f64 v[12:13], -v[20:21], v[22:23], 1.0
	v_fmac_f64_e32 v[22:23], v[22:23], v[12:13]
	v_fma_f64 v[12:13], -v[20:21], v[22:23], 1.0
	v_fmac_f64_e32 v[22:23], v[22:23], v[12:13]
	ds_read2_b64 v[12:15], v1 offset0:68 offset1:136
	v_mul_f64 v[26:27], v[24:25], v[22:23]
	v_fma_f64 v[20:21], -v[20:21], v[26:27], v[24:25]
	v_div_fmas_f64 v[20:21], v[20:21], v[22:23], v[26:27]
	v_div_fixup_f64 v[4:5], v[20:21], v[8:9], v[4:5]
	s_waitcnt lgkmcnt(0)
	v_div_scale_f64 v[24:25], s[0:1], v[18:19], v[18:19], v[12:13]
	v_rcp_f64_e32 v[28:29], v[24:25]
	v_fma_f64 v[6:7], -v[4:5], v[10:11], v[6:7]
	v_fma_f64 v[8:9], -v[24:25], v[28:29], 1.0
	v_fmac_f64_e32 v[28:29], v[28:29], v[8:9]
	v_fma_f64 v[8:9], -v[24:25], v[28:29], 1.0
	v_fmac_f64_e32 v[28:29], v[28:29], v[8:9]
	v_div_scale_f64 v[8:9], vcc, v[12:13], v[18:19], v[12:13]
	v_mul_f64 v[20:21], v[8:9], v[28:29]
	v_fma_f64 v[8:9], -v[24:25], v[20:21], v[8:9]
	s_nop 1
	v_div_fmas_f64 v[8:9], v[8:9], v[28:29], v[20:21]
	v_div_fixup_f64 v[8:9], v[8:9], v[18:19], v[12:13]
	ds_read_b64 v[12:13], v30 offset:1024
	ds_read2_b64 v[18:21], v32 offset0:76 offset1:144
	ds_read_b64 v[22:23], v31
	v_fma_f64 v[6:7], -v[8:9], v[16:17], v[6:7]
	v_cmp_gt_u32_e32 vcc, 16, v0
	s_waitcnt lgkmcnt(2)
	v_fma_f64 v[10:11], -v[4:5], v[12:13], v[14:15]
	s_waitcnt lgkmcnt(1)
	v_fma_f64 v[10:11], -v[8:9], v[20:21], v[10:11]
	s_waitcnt lgkmcnt(0)
	v_mul_f64 v[4:5], v[4:5], -v[22:23]
	v_mul_f64 v[8:9], v[8:9], -v[18:19]
	s_waitcnt lgkmcnt(0)
	; wave barrier
	ds_write2_b64 v1, v[4:5], v[6:7] offset1:34
	ds_write2_b64 v1, v[8:9], v[10:11] offset0:68 offset1:136
	s_waitcnt lgkmcnt(0)
	; wave barrier
	s_waitcnt lgkmcnt(0)
	s_and_saveexec_b64 s[0:1], vcc
	s_cbranch_execz .LBB25_2
; %bb.1:
	v_add_u32_e32 v4, 0x220, v1
	v_add_u32_e32 v0, 0x110, v1
	ds_read_b64 v[12:13], v4
	ds_read_b64 v[14:15], v1 offset:128
	ds_read2_b64 v[4:7], v0 offset1:16
	v_add_u32_e32 v0, 0x440, v1
	s_waitcnt lgkmcnt(1)
	v_mul_f64 v[8:9], v[12:13], v[14:15]
	s_waitcnt lgkmcnt(0)
	v_fma_f64 v[16:17], v[6:7], v[4:5], -v[8:9]
	v_div_scale_f64 v[18:19], s[2:3], v[16:17], v[16:17], 1.0
	v_rcp_f64_e32 v[20:21], v[18:19]
	v_div_scale_f64 v[22:23], vcc, 1.0, v[16:17], 1.0
	v_fma_f64 v[8:9], -v[18:19], v[20:21], 1.0
	v_fmac_f64_e32 v[20:21], v[20:21], v[8:9]
	v_fma_f64 v[8:9], -v[18:19], v[20:21], 1.0
	v_fmac_f64_e32 v[20:21], v[20:21], v[8:9]
	ds_read2_b64 v[8:11], v0 offset1:16
	v_mul_f64 v[24:25], v[22:23], v[20:21]
	v_fma_f64 v[18:19], -v[18:19], v[24:25], v[22:23]
	v_div_fmas_f64 v[18:19], v[18:19], v[20:21], v[24:25]
	v_div_fixup_f64 v[16:17], v[18:19], v[16:17], 1.0
	s_waitcnt lgkmcnt(0)
	v_mul_f64 v[12:13], v[12:13], v[10:11]
	v_fma_f64 v[6:7], v[6:7], v[8:9], -v[12:13]
	v_mul_f64 v[8:9], v[14:15], v[8:9]
	v_fma_f64 v[4:5], v[4:5], v[10:11], -v[8:9]
	v_mul_f64 v[6:7], v[16:17], v[6:7]
	v_mul_f64 v[4:5], v[16:17], v[4:5]
	ds_write2_b64 v1, v[6:7], v[4:5] offset0:102 offset1:118
.LBB25_2:
	s_or_b64 exec, exec, s[0:1]
	s_waitcnt lgkmcnt(0)
	; wave barrier
	s_waitcnt lgkmcnt(0)
	ds_read_b64 v[0:1], v1 offset:816
	s_waitcnt lgkmcnt(0)
	global_store_dwordx2 v[2:3], v[0:1], off
	s_endpgm
	.section	.rodata,"a",@progbits
	.p2align	6, 0x0
	.amdhsa_kernel _ZN9rocsparseL49gtsv_nopivot_strided_batch_pcr_pow2_shared_kernelILj32EdEEviiiPKT0_S3_S3_PS1_
		.amdhsa_group_segment_fixed_size 1352
		.amdhsa_private_segment_fixed_size 0
		.amdhsa_kernarg_size 48
		.amdhsa_user_sgpr_count 6
		.amdhsa_user_sgpr_private_segment_buffer 1
		.amdhsa_user_sgpr_dispatch_ptr 0
		.amdhsa_user_sgpr_queue_ptr 0
		.amdhsa_user_sgpr_kernarg_segment_ptr 1
		.amdhsa_user_sgpr_dispatch_id 0
		.amdhsa_user_sgpr_flat_scratch_init 0
		.amdhsa_user_sgpr_kernarg_preload_length 0
		.amdhsa_user_sgpr_kernarg_preload_offset 0
		.amdhsa_user_sgpr_private_segment_size 0
		.amdhsa_uses_dynamic_stack 0
		.amdhsa_system_sgpr_private_segment_wavefront_offset 0
		.amdhsa_system_sgpr_workgroup_id_x 1
		.amdhsa_system_sgpr_workgroup_id_y 0
		.amdhsa_system_sgpr_workgroup_id_z 0
		.amdhsa_system_sgpr_workgroup_info 0
		.amdhsa_system_vgpr_workitem_id 0
		.amdhsa_next_free_vgpr 47
		.amdhsa_next_free_sgpr 16
		.amdhsa_accum_offset 48
		.amdhsa_reserve_vcc 1
		.amdhsa_reserve_flat_scratch 0
		.amdhsa_float_round_mode_32 0
		.amdhsa_float_round_mode_16_64 0
		.amdhsa_float_denorm_mode_32 3
		.amdhsa_float_denorm_mode_16_64 3
		.amdhsa_dx10_clamp 1
		.amdhsa_ieee_mode 1
		.amdhsa_fp16_overflow 0
		.amdhsa_tg_split 0
		.amdhsa_exception_fp_ieee_invalid_op 0
		.amdhsa_exception_fp_denorm_src 0
		.amdhsa_exception_fp_ieee_div_zero 0
		.amdhsa_exception_fp_ieee_overflow 0
		.amdhsa_exception_fp_ieee_underflow 0
		.amdhsa_exception_fp_ieee_inexact 0
		.amdhsa_exception_int_div_zero 0
	.end_amdhsa_kernel
	.section	.text._ZN9rocsparseL49gtsv_nopivot_strided_batch_pcr_pow2_shared_kernelILj32EdEEviiiPKT0_S3_S3_PS1_,"axG",@progbits,_ZN9rocsparseL49gtsv_nopivot_strided_batch_pcr_pow2_shared_kernelILj32EdEEviiiPKT0_S3_S3_PS1_,comdat
.Lfunc_end25:
	.size	_ZN9rocsparseL49gtsv_nopivot_strided_batch_pcr_pow2_shared_kernelILj32EdEEviiiPKT0_S3_S3_PS1_, .Lfunc_end25-_ZN9rocsparseL49gtsv_nopivot_strided_batch_pcr_pow2_shared_kernelILj32EdEEviiiPKT0_S3_S3_PS1_
                                        ; -- End function
	.section	.AMDGPU.csdata,"",@progbits
; Kernel info:
; codeLenInByte = 1712
; NumSgprs: 20
; NumVgprs: 47
; NumAgprs: 0
; TotalNumVgprs: 47
; ScratchSize: 0
; MemoryBound: 1
; FloatMode: 240
; IeeeMode: 1
; LDSByteSize: 1352 bytes/workgroup (compile time only)
; SGPRBlocks: 2
; VGPRBlocks: 5
; NumSGPRsForWavesPerEU: 20
; NumVGPRsForWavesPerEU: 47
; AccumOffset: 48
; Occupancy: 8
; WaveLimiterHint : 1
; COMPUTE_PGM_RSRC2:SCRATCH_EN: 0
; COMPUTE_PGM_RSRC2:USER_SGPR: 6
; COMPUTE_PGM_RSRC2:TRAP_HANDLER: 0
; COMPUTE_PGM_RSRC2:TGID_X_EN: 1
; COMPUTE_PGM_RSRC2:TGID_Y_EN: 0
; COMPUTE_PGM_RSRC2:TGID_Z_EN: 0
; COMPUTE_PGM_RSRC2:TIDIG_COMP_CNT: 0
; COMPUTE_PGM_RSRC3_GFX90A:ACCUM_OFFSET: 11
; COMPUTE_PGM_RSRC3_GFX90A:TG_SPLIT: 0
	.section	.text._ZN9rocsparseL49gtsv_nopivot_strided_batch_pcr_pow2_shared_kernelILj64EdEEviiiPKT0_S3_S3_PS1_,"axG",@progbits,_ZN9rocsparseL49gtsv_nopivot_strided_batch_pcr_pow2_shared_kernelILj64EdEEviiiPKT0_S3_S3_PS1_,comdat
	.globl	_ZN9rocsparseL49gtsv_nopivot_strided_batch_pcr_pow2_shared_kernelILj64EdEEviiiPKT0_S3_S3_PS1_ ; -- Begin function _ZN9rocsparseL49gtsv_nopivot_strided_batch_pcr_pow2_shared_kernelILj64EdEEviiiPKT0_S3_S3_PS1_
	.p2align	8
	.type	_ZN9rocsparseL49gtsv_nopivot_strided_batch_pcr_pow2_shared_kernelILj64EdEEviiiPKT0_S3_S3_PS1_,@function
_ZN9rocsparseL49gtsv_nopivot_strided_batch_pcr_pow2_shared_kernelILj64EdEEviiiPKT0_S3_S3_PS1_: ; @_ZN9rocsparseL49gtsv_nopivot_strided_batch_pcr_pow2_shared_kernelILj64EdEEviiiPKT0_S3_S3_PS1_
; %bb.0:
	s_load_dword s0, s[4:5], 0x8
	s_load_dwordx8 s[8:15], s[4:5], 0x10
	v_min_u32_e32 v12, 62, v0
	v_max_u32_e32 v13, 1, v0
	v_lshlrev_b32_e32 v24, 3, v13
	s_waitcnt lgkmcnt(0)
	s_mul_i32 s6, s6, s0
	v_add_u32_e32 v2, s6, v0
	v_ashrrev_i32_e32 v3, 31, v2
	v_lshlrev_b64 v[2:3], 3, v[2:3]
	v_mov_b32_e32 v1, s9
	v_add_co_u32_e32 v4, vcc, s8, v2
	v_addc_co_u32_e32 v5, vcc, v1, v3, vcc
	v_mov_b32_e32 v1, s11
	v_add_co_u32_e32 v6, vcc, s10, v2
	v_addc_co_u32_e32 v7, vcc, v1, v3, vcc
	;; [unrolled: 3-line block ×3, first 2 shown]
	v_mov_b32_e32 v1, s15
	v_add_co_u32_e32 v2, vcc, s14, v2
	global_load_dwordx2 v[4:5], v[4:5], off
	v_addc_co_u32_e32 v3, vcc, v1, v3, vcc
	global_load_dwordx2 v[6:7], v[6:7], off
	v_lshlrev_b32_e32 v16, 3, v12
	global_load_dwordx2 v[8:9], v[8:9], off
	v_lshlrev_b32_e32 v1, 3, v0
	global_load_dwordx2 v[10:11], v[2:3], off
	v_min_u32_e32 v14, 61, v0
	v_max_u32_e32 v15, 2, v0
	v_add_u32_e32 v26, -8, v24
	v_add_u32_e32 v20, 0x400, v16
	v_add_u32_e32 v44, 0x400, v1
	v_lshlrev_b32_e32 v45, 3, v15
	v_lshlrev_b32_e32 v46, 3, v14
	v_add_u32_e32 v47, -16, v45
	s_waitcnt vmcnt(2)
	ds_write2_b64 v1, v[4:5], v[6:7] offset1:66
	s_waitcnt vmcnt(0)
	ds_write2_b64 v44, v[8:9], v[10:11] offset0:4 offset1:136
	s_waitcnt lgkmcnt(0)
	; wave barrier
	s_waitcnt lgkmcnt(0)
	ds_read2_b64 v[4:7], v1 offset1:66
	ds_read2_b64 v[8:11], v24 offset0:65 offset1:131
	ds_read2_b64 v[12:15], v44 offset0:4 offset1:136
	ds_read2_b64 v[16:19], v16 offset0:1 offset1:67
	ds_read2_b64 v[20:23], v20 offset0:5 offset1:137
	ds_read_b64 v[24:25], v24 offset:2104
	ds_read_b64 v[26:27], v26
	s_waitcnt lgkmcnt(5)
	v_div_scale_f64 v[28:29], s[0:1], v[8:9], v[8:9], v[4:5]
	s_waitcnt lgkmcnt(3)
	v_div_scale_f64 v[32:33], s[0:1], v[18:19], v[18:19], v[12:13]
	v_rcp_f64_e32 v[34:35], v[28:29]
	v_rcp_f64_e32 v[36:37], v[32:33]
	v_div_scale_f64 v[30:31], vcc, v[4:5], v[8:9], v[4:5]
	v_fma_f64 v[40:41], -v[28:29], v[34:35], 1.0
	v_fma_f64 v[42:43], -v[32:33], v[36:37], 1.0
	v_fmac_f64_e32 v[34:35], v[34:35], v[40:41]
	v_fmac_f64_e32 v[36:37], v[36:37], v[42:43]
	v_fma_f64 v[40:41], -v[28:29], v[34:35], 1.0
	v_fma_f64 v[42:43], -v[32:33], v[36:37], 1.0
	v_fmac_f64_e32 v[34:35], v[34:35], v[40:41]
	v_div_scale_f64 v[38:39], s[0:1], v[12:13], v[18:19], v[12:13]
	v_fmac_f64_e32 v[36:37], v[36:37], v[42:43]
	v_mul_f64 v[40:41], v[30:31], v[34:35]
	v_mul_f64 v[42:43], v[38:39], v[36:37]
	v_fma_f64 v[28:29], -v[28:29], v[40:41], v[30:31]
	v_fma_f64 v[30:31], -v[32:33], v[42:43], v[38:39]
	v_div_fmas_f64 v[28:29], v[28:29], v[34:35], v[40:41]
	s_mov_b64 vcc, s[0:1]
	v_div_fixup_f64 v[4:5], v[28:29], v[8:9], v[4:5]
	v_div_fmas_f64 v[8:9], v[30:31], v[36:37], v[42:43]
	v_div_fixup_f64 v[8:9], v[8:9], v[18:19], v[12:13]
	v_fma_f64 v[6:7], -v[4:5], v[10:11], v[6:7]
	s_waitcnt lgkmcnt(1)
	v_fma_f64 v[10:11], -v[4:5], v[24:25], v[14:15]
	s_waitcnt lgkmcnt(0)
	v_mul_f64 v[4:5], v[4:5], -v[26:27]
	v_fma_f64 v[6:7], -v[8:9], v[16:17], v[6:7]
	v_fma_f64 v[10:11], -v[8:9], v[22:23], v[10:11]
	v_mul_f64 v[8:9], v[8:9], -v[20:21]
	s_waitcnt lgkmcnt(0)
	; wave barrier
	ds_write2_b64 v1, v[4:5], v[6:7] offset1:66
	ds_write2_b64 v44, v[8:9], v[10:11] offset0:4 offset1:136
	s_waitcnt lgkmcnt(0)
	; wave barrier
	s_waitcnt lgkmcnt(0)
	ds_read2_b64 v[4:7], v1 offset1:66
	ds_read2_b64 v[8:11], v45 offset0:64 offset1:130
	ds_read2_b64 v[12:15], v44 offset0:4 offset1:136
	;; [unrolled: 1-line block ×3, first 2 shown]
	v_add_u32_e32 v36, 0x400, v46
	s_waitcnt lgkmcnt(2)
	v_div_scale_f64 v[20:21], s[0:1], v[8:9], v[8:9], v[4:5]
	s_waitcnt lgkmcnt(0)
	v_div_scale_f64 v[24:25], s[0:1], v[18:19], v[18:19], v[12:13]
	v_rcp_f64_e32 v[26:27], v[20:21]
	v_rcp_f64_e32 v[28:29], v[24:25]
	v_div_scale_f64 v[22:23], vcc, v[4:5], v[8:9], v[4:5]
	v_fma_f64 v[32:33], -v[20:21], v[26:27], 1.0
	v_fma_f64 v[34:35], -v[24:25], v[28:29], 1.0
	v_fmac_f64_e32 v[26:27], v[26:27], v[32:33]
	v_fmac_f64_e32 v[28:29], v[28:29], v[34:35]
	v_fma_f64 v[32:33], -v[20:21], v[26:27], 1.0
	v_fma_f64 v[34:35], -v[24:25], v[28:29], 1.0
	v_fmac_f64_e32 v[26:27], v[26:27], v[32:33]
	v_div_scale_f64 v[30:31], s[0:1], v[12:13], v[18:19], v[12:13]
	v_fmac_f64_e32 v[28:29], v[28:29], v[34:35]
	v_mul_f64 v[32:33], v[22:23], v[26:27]
	v_mul_f64 v[34:35], v[30:31], v[28:29]
	v_fma_f64 v[20:21], -v[20:21], v[32:33], v[22:23]
	v_fma_f64 v[22:23], -v[24:25], v[34:35], v[30:31]
	v_div_fmas_f64 v[20:21], v[20:21], v[26:27], v[32:33]
	s_mov_b64 vcc, s[0:1]
	v_div_fixup_f64 v[4:5], v[20:21], v[8:9], v[4:5]
	v_div_fmas_f64 v[8:9], v[22:23], v[28:29], v[34:35]
	v_div_fixup_f64 v[8:9], v[8:9], v[18:19], v[12:13]
	ds_read_b64 v[12:13], v45 offset:2096
	ds_read2_b64 v[18:21], v36 offset0:6 offset1:138
	ds_read_b64 v[22:23], v47
	v_fma_f64 v[6:7], -v[4:5], v[10:11], v[6:7]
	v_fma_f64 v[6:7], -v[8:9], v[16:17], v[6:7]
	s_waitcnt lgkmcnt(2)
	v_fma_f64 v[10:11], -v[4:5], v[12:13], v[14:15]
	s_waitcnt lgkmcnt(1)
	;; [unrolled: 2-line block ×3, first 2 shown]
	v_mul_f64 v[4:5], v[4:5], -v[22:23]
	v_mul_f64 v[8:9], v[8:9], -v[18:19]
	s_waitcnt lgkmcnt(0)
	; wave barrier
	ds_write2_b64 v1, v[4:5], v[6:7] offset1:66
	ds_write2_b64 v44, v[8:9], v[10:11] offset0:4 offset1:136
	v_max_u32_e32 v4, 4, v0
	s_waitcnt lgkmcnt(0)
	; wave barrier
	s_waitcnt lgkmcnt(0)
	v_lshlrev_b32_e32 v30, 3, v4
	ds_read2_b64 v[4:7], v1 offset1:66
	ds_read2_b64 v[8:11], v30 offset0:62 offset1:128
	v_min_u32_e32 v16, 59, v0
	v_lshlrev_b32_e32 v32, 3, v16
	ds_read2_b64 v[16:19], v32 offset0:4 offset1:70
	v_subrev_u32_e32 v31, 32, v30
	s_waitcnt lgkmcnt(1)
	v_div_scale_f64 v[20:21], s[0:1], v[8:9], v[8:9], v[4:5]
	v_rcp_f64_e32 v[22:23], v[20:21]
	v_div_scale_f64 v[24:25], vcc, v[4:5], v[8:9], v[4:5]
	v_fma_f64 v[12:13], -v[20:21], v[22:23], 1.0
	v_fmac_f64_e32 v[22:23], v[22:23], v[12:13]
	v_fma_f64 v[12:13], -v[20:21], v[22:23], 1.0
	v_fmac_f64_e32 v[22:23], v[22:23], v[12:13]
	ds_read2_b64 v[12:15], v44 offset0:4 offset1:136
	v_mul_f64 v[26:27], v[24:25], v[22:23]
	v_fma_f64 v[20:21], -v[20:21], v[26:27], v[24:25]
	v_div_fmas_f64 v[20:21], v[20:21], v[22:23], v[26:27]
	v_div_fixup_f64 v[4:5], v[20:21], v[8:9], v[4:5]
	s_waitcnt lgkmcnt(0)
	v_div_scale_f64 v[24:25], s[0:1], v[18:19], v[18:19], v[12:13]
	v_rcp_f64_e32 v[28:29], v[24:25]
	v_fma_f64 v[6:7], -v[4:5], v[10:11], v[6:7]
	v_fma_f64 v[8:9], -v[24:25], v[28:29], 1.0
	v_fmac_f64_e32 v[28:29], v[28:29], v[8:9]
	v_fma_f64 v[8:9], -v[24:25], v[28:29], 1.0
	v_fmac_f64_e32 v[28:29], v[28:29], v[8:9]
	v_div_scale_f64 v[8:9], vcc, v[12:13], v[18:19], v[12:13]
	v_mul_f64 v[20:21], v[8:9], v[28:29]
	v_fma_f64 v[8:9], -v[24:25], v[20:21], v[8:9]
	s_nop 1
	v_div_fmas_f64 v[8:9], v[8:9], v[28:29], v[20:21]
	v_div_fixup_f64 v[8:9], v[8:9], v[18:19], v[12:13]
	v_add_u32_e32 v18, 0x400, v32
	ds_read_b64 v[12:13], v30 offset:2080
	ds_read2_b64 v[18:21], v18 offset0:8 offset1:140
	ds_read_b64 v[22:23], v31
	v_fma_f64 v[6:7], -v[8:9], v[16:17], v[6:7]
	s_waitcnt lgkmcnt(0)
	v_fma_f64 v[10:11], -v[4:5], v[12:13], v[14:15]
	v_fma_f64 v[10:11], -v[8:9], v[20:21], v[10:11]
	v_mul_f64 v[4:5], v[4:5], -v[22:23]
	v_mul_f64 v[8:9], v[8:9], -v[18:19]
	; wave barrier
	ds_write2_b64 v1, v[4:5], v[6:7] offset1:66
	ds_write2_b64 v44, v[8:9], v[10:11] offset0:4 offset1:136
	v_max_u32_e32 v4, 8, v0
	s_waitcnt lgkmcnt(0)
	; wave barrier
	s_waitcnt lgkmcnt(0)
	v_lshlrev_b32_e32 v30, 3, v4
	ds_read2_b64 v[4:7], v1 offset1:66
	ds_read2_b64 v[8:11], v30 offset0:58 offset1:124
	v_min_u32_e32 v16, 55, v0
	v_lshlrev_b32_e32 v32, 3, v16
	ds_read2_b64 v[16:19], v32 offset0:8 offset1:74
	v_subrev_u32_e32 v31, 64, v30
	s_waitcnt lgkmcnt(1)
	v_div_scale_f64 v[20:21], s[0:1], v[8:9], v[8:9], v[4:5]
	v_rcp_f64_e32 v[22:23], v[20:21]
	v_div_scale_f64 v[24:25], vcc, v[4:5], v[8:9], v[4:5]
	v_fma_f64 v[12:13], -v[20:21], v[22:23], 1.0
	v_fmac_f64_e32 v[22:23], v[22:23], v[12:13]
	v_fma_f64 v[12:13], -v[20:21], v[22:23], 1.0
	v_fmac_f64_e32 v[22:23], v[22:23], v[12:13]
	ds_read2_b64 v[12:15], v44 offset0:4 offset1:136
	v_mul_f64 v[26:27], v[24:25], v[22:23]
	v_fma_f64 v[20:21], -v[20:21], v[26:27], v[24:25]
	v_div_fmas_f64 v[20:21], v[20:21], v[22:23], v[26:27]
	v_div_fixup_f64 v[4:5], v[20:21], v[8:9], v[4:5]
	s_waitcnt lgkmcnt(0)
	v_div_scale_f64 v[24:25], s[0:1], v[18:19], v[18:19], v[12:13]
	v_rcp_f64_e32 v[28:29], v[24:25]
	v_fma_f64 v[6:7], -v[4:5], v[10:11], v[6:7]
	v_fma_f64 v[8:9], -v[24:25], v[28:29], 1.0
	v_fmac_f64_e32 v[28:29], v[28:29], v[8:9]
	v_fma_f64 v[8:9], -v[24:25], v[28:29], 1.0
	v_fmac_f64_e32 v[28:29], v[28:29], v[8:9]
	v_div_scale_f64 v[8:9], vcc, v[12:13], v[18:19], v[12:13]
	v_mul_f64 v[20:21], v[8:9], v[28:29]
	v_fma_f64 v[8:9], -v[24:25], v[20:21], v[8:9]
	s_nop 1
	v_div_fmas_f64 v[8:9], v[8:9], v[28:29], v[20:21]
	v_div_fixup_f64 v[8:9], v[8:9], v[18:19], v[12:13]
	v_add_u32_e32 v18, 0x400, v32
	ds_read_b64 v[12:13], v30 offset:2048
	ds_read2_b64 v[18:21], v18 offset0:12 offset1:144
	ds_read_b64 v[22:23], v31
	v_fma_f64 v[6:7], -v[8:9], v[16:17], v[6:7]
	s_waitcnt lgkmcnt(0)
	v_fma_f64 v[10:11], -v[4:5], v[12:13], v[14:15]
	v_fma_f64 v[10:11], -v[8:9], v[20:21], v[10:11]
	v_mul_f64 v[4:5], v[4:5], -v[22:23]
	v_mul_f64 v[8:9], v[8:9], -v[18:19]
	; wave barrier
	ds_write2_b64 v1, v[4:5], v[6:7] offset1:66
	ds_write2_b64 v44, v[8:9], v[10:11] offset0:4 offset1:136
	v_max_u32_e32 v4, 16, v0
	s_waitcnt lgkmcnt(0)
	; wave barrier
	s_waitcnt lgkmcnt(0)
	v_lshlrev_b32_e32 v30, 3, v4
	ds_read2_b64 v[4:7], v1 offset1:66
	ds_read2_b64 v[8:11], v30 offset0:50 offset1:116
	v_min_u32_e32 v16, 47, v0
	v_lshlrev_b32_e32 v32, 3, v16
	ds_read2_b64 v[16:19], v32 offset0:16 offset1:82
	v_add_u32_e32 v31, 0xffffff80, v30
	s_waitcnt lgkmcnt(1)
	v_div_scale_f64 v[20:21], s[0:1], v[8:9], v[8:9], v[4:5]
	v_rcp_f64_e32 v[22:23], v[20:21]
	v_div_scale_f64 v[24:25], vcc, v[4:5], v[8:9], v[4:5]
	v_fma_f64 v[12:13], -v[20:21], v[22:23], 1.0
	v_fmac_f64_e32 v[22:23], v[22:23], v[12:13]
	v_fma_f64 v[12:13], -v[20:21], v[22:23], 1.0
	v_fmac_f64_e32 v[22:23], v[22:23], v[12:13]
	ds_read2_b64 v[12:15], v44 offset0:4 offset1:136
	v_mul_f64 v[26:27], v[24:25], v[22:23]
	v_fma_f64 v[20:21], -v[20:21], v[26:27], v[24:25]
	v_div_fmas_f64 v[20:21], v[20:21], v[22:23], v[26:27]
	v_div_fixup_f64 v[4:5], v[20:21], v[8:9], v[4:5]
	s_waitcnt lgkmcnt(0)
	v_div_scale_f64 v[24:25], s[0:1], v[18:19], v[18:19], v[12:13]
	v_rcp_f64_e32 v[28:29], v[24:25]
	v_fma_f64 v[6:7], -v[4:5], v[10:11], v[6:7]
	v_fma_f64 v[8:9], -v[24:25], v[28:29], 1.0
	v_fmac_f64_e32 v[28:29], v[28:29], v[8:9]
	v_fma_f64 v[8:9], -v[24:25], v[28:29], 1.0
	v_fmac_f64_e32 v[28:29], v[28:29], v[8:9]
	v_div_scale_f64 v[8:9], vcc, v[12:13], v[18:19], v[12:13]
	v_mul_f64 v[20:21], v[8:9], v[28:29]
	v_fma_f64 v[8:9], -v[24:25], v[20:21], v[8:9]
	s_nop 1
	v_div_fmas_f64 v[8:9], v[8:9], v[28:29], v[20:21]
	v_div_fixup_f64 v[8:9], v[8:9], v[18:19], v[12:13]
	v_add_u32_e32 v18, 0x400, v32
	ds_read_b64 v[12:13], v30 offset:1984
	ds_read2_b64 v[18:21], v18 offset0:20 offset1:152
	ds_read_b64 v[22:23], v31
	v_fma_f64 v[6:7], -v[8:9], v[16:17], v[6:7]
	v_cmp_gt_u32_e32 vcc, 32, v0
	s_waitcnt lgkmcnt(2)
	v_fma_f64 v[10:11], -v[4:5], v[12:13], v[14:15]
	s_waitcnt lgkmcnt(1)
	v_fma_f64 v[10:11], -v[8:9], v[20:21], v[10:11]
	s_waitcnt lgkmcnt(0)
	v_mul_f64 v[4:5], v[4:5], -v[22:23]
	v_mul_f64 v[8:9], v[8:9], -v[18:19]
	s_waitcnt lgkmcnt(0)
	; wave barrier
	ds_write2_b64 v1, v[4:5], v[6:7] offset1:66
	ds_write2_b64 v44, v[8:9], v[10:11] offset0:4 offset1:136
	s_waitcnt lgkmcnt(0)
	; wave barrier
	s_waitcnt lgkmcnt(0)
	s_and_saveexec_b64 s[0:1], vcc
	s_cbranch_execz .LBB26_2
; %bb.1:
	v_add_u32_e32 v4, 0x420, v1
	v_add_u32_e32 v0, 0x210, v1
	ds_read_b64 v[12:13], v4
	ds_read_b64 v[14:15], v1 offset:256
	ds_read2_b64 v[4:7], v0 offset1:32
	v_add_u32_e32 v0, 0x840, v1
	s_waitcnt lgkmcnt(1)
	v_mul_f64 v[8:9], v[12:13], v[14:15]
	s_waitcnt lgkmcnt(0)
	v_fma_f64 v[16:17], v[6:7], v[4:5], -v[8:9]
	v_div_scale_f64 v[18:19], s[2:3], v[16:17], v[16:17], 1.0
	v_rcp_f64_e32 v[20:21], v[18:19]
	v_div_scale_f64 v[22:23], vcc, 1.0, v[16:17], 1.0
	v_fma_f64 v[8:9], -v[18:19], v[20:21], 1.0
	v_fmac_f64_e32 v[20:21], v[20:21], v[8:9]
	v_fma_f64 v[8:9], -v[18:19], v[20:21], 1.0
	v_fmac_f64_e32 v[20:21], v[20:21], v[8:9]
	ds_read2_b64 v[8:11], v0 offset1:32
	v_mul_f64 v[24:25], v[22:23], v[20:21]
	v_fma_f64 v[18:19], -v[18:19], v[24:25], v[22:23]
	v_div_fmas_f64 v[18:19], v[18:19], v[20:21], v[24:25]
	v_div_fixup_f64 v[16:17], v[18:19], v[16:17], 1.0
	s_waitcnt lgkmcnt(0)
	v_mul_f64 v[12:13], v[12:13], v[10:11]
	v_fma_f64 v[6:7], v[6:7], v[8:9], -v[12:13]
	v_mul_f64 v[8:9], v[14:15], v[8:9]
	v_fma_f64 v[4:5], v[4:5], v[10:11], -v[8:9]
	v_mul_f64 v[6:7], v[16:17], v[6:7]
	v_mul_f64 v[4:5], v[16:17], v[4:5]
	ds_write2_b64 v1, v[6:7], v[4:5] offset0:198 offset1:230
.LBB26_2:
	s_or_b64 exec, exec, s[0:1]
	s_waitcnt lgkmcnt(0)
	; wave barrier
	s_waitcnt lgkmcnt(0)
	ds_read_b64 v[0:1], v1 offset:1584
	s_waitcnt lgkmcnt(0)
	global_store_dwordx2 v[2:3], v[0:1], off
	s_endpgm
	.section	.rodata,"a",@progbits
	.p2align	6, 0x0
	.amdhsa_kernel _ZN9rocsparseL49gtsv_nopivot_strided_batch_pcr_pow2_shared_kernelILj64EdEEviiiPKT0_S3_S3_PS1_
		.amdhsa_group_segment_fixed_size 2632
		.amdhsa_private_segment_fixed_size 0
		.amdhsa_kernarg_size 48
		.amdhsa_user_sgpr_count 6
		.amdhsa_user_sgpr_private_segment_buffer 1
		.amdhsa_user_sgpr_dispatch_ptr 0
		.amdhsa_user_sgpr_queue_ptr 0
		.amdhsa_user_sgpr_kernarg_segment_ptr 1
		.amdhsa_user_sgpr_dispatch_id 0
		.amdhsa_user_sgpr_flat_scratch_init 0
		.amdhsa_user_sgpr_kernarg_preload_length 0
		.amdhsa_user_sgpr_kernarg_preload_offset 0
		.amdhsa_user_sgpr_private_segment_size 0
		.amdhsa_uses_dynamic_stack 0
		.amdhsa_system_sgpr_private_segment_wavefront_offset 0
		.amdhsa_system_sgpr_workgroup_id_x 1
		.amdhsa_system_sgpr_workgroup_id_y 0
		.amdhsa_system_sgpr_workgroup_id_z 0
		.amdhsa_system_sgpr_workgroup_info 0
		.amdhsa_system_vgpr_workitem_id 0
		.amdhsa_next_free_vgpr 48
		.amdhsa_next_free_sgpr 16
		.amdhsa_accum_offset 48
		.amdhsa_reserve_vcc 1
		.amdhsa_reserve_flat_scratch 0
		.amdhsa_float_round_mode_32 0
		.amdhsa_float_round_mode_16_64 0
		.amdhsa_float_denorm_mode_32 3
		.amdhsa_float_denorm_mode_16_64 3
		.amdhsa_dx10_clamp 1
		.amdhsa_ieee_mode 1
		.amdhsa_fp16_overflow 0
		.amdhsa_tg_split 0
		.amdhsa_exception_fp_ieee_invalid_op 0
		.amdhsa_exception_fp_denorm_src 0
		.amdhsa_exception_fp_ieee_div_zero 0
		.amdhsa_exception_fp_ieee_overflow 0
		.amdhsa_exception_fp_ieee_underflow 0
		.amdhsa_exception_fp_ieee_inexact 0
		.amdhsa_exception_int_div_zero 0
	.end_amdhsa_kernel
	.section	.text._ZN9rocsparseL49gtsv_nopivot_strided_batch_pcr_pow2_shared_kernelILj64EdEEviiiPKT0_S3_S3_PS1_,"axG",@progbits,_ZN9rocsparseL49gtsv_nopivot_strided_batch_pcr_pow2_shared_kernelILj64EdEEviiiPKT0_S3_S3_PS1_,comdat
.Lfunc_end26:
	.size	_ZN9rocsparseL49gtsv_nopivot_strided_batch_pcr_pow2_shared_kernelILj64EdEEviiiPKT0_S3_S3_PS1_, .Lfunc_end26-_ZN9rocsparseL49gtsv_nopivot_strided_batch_pcr_pow2_shared_kernelILj64EdEEviiiPKT0_S3_S3_PS1_
                                        ; -- End function
	.section	.AMDGPU.csdata,"",@progbits
; Kernel info:
; codeLenInByte = 2084
; NumSgprs: 20
; NumVgprs: 48
; NumAgprs: 0
; TotalNumVgprs: 48
; ScratchSize: 0
; MemoryBound: 1
; FloatMode: 240
; IeeeMode: 1
; LDSByteSize: 2632 bytes/workgroup (compile time only)
; SGPRBlocks: 2
; VGPRBlocks: 5
; NumSGPRsForWavesPerEU: 20
; NumVGPRsForWavesPerEU: 48
; AccumOffset: 48
; Occupancy: 6
; WaveLimiterHint : 1
; COMPUTE_PGM_RSRC2:SCRATCH_EN: 0
; COMPUTE_PGM_RSRC2:USER_SGPR: 6
; COMPUTE_PGM_RSRC2:TRAP_HANDLER: 0
; COMPUTE_PGM_RSRC2:TGID_X_EN: 1
; COMPUTE_PGM_RSRC2:TGID_Y_EN: 0
; COMPUTE_PGM_RSRC2:TGID_Z_EN: 0
; COMPUTE_PGM_RSRC2:TIDIG_COMP_CNT: 0
; COMPUTE_PGM_RSRC3_GFX90A:ACCUM_OFFSET: 11
; COMPUTE_PGM_RSRC3_GFX90A:TG_SPLIT: 0
	.section	.text._ZN9rocsparseL51gtsv_nopivot_strided_batch_crpcr_pow2_shared_kernelILj64ELj64EdEEviiiPKT1_S3_S3_PS1_,"axG",@progbits,_ZN9rocsparseL51gtsv_nopivot_strided_batch_crpcr_pow2_shared_kernelILj64ELj64EdEEviiiPKT1_S3_S3_PS1_,comdat
	.globl	_ZN9rocsparseL51gtsv_nopivot_strided_batch_crpcr_pow2_shared_kernelILj64ELj64EdEEviiiPKT1_S3_S3_PS1_ ; -- Begin function _ZN9rocsparseL51gtsv_nopivot_strided_batch_crpcr_pow2_shared_kernelILj64ELj64EdEEviiiPKT1_S3_S3_PS1_
	.p2align	8
	.type	_ZN9rocsparseL51gtsv_nopivot_strided_batch_crpcr_pow2_shared_kernelILj64ELj64EdEEviiiPKT1_S3_S3_PS1_,@function
_ZN9rocsparseL51gtsv_nopivot_strided_batch_crpcr_pow2_shared_kernelILj64ELj64EdEEviiiPKT1_S3_S3_PS1_: ; @_ZN9rocsparseL51gtsv_nopivot_strided_batch_crpcr_pow2_shared_kernelILj64ELj64EdEEviiiPKT1_S3_S3_PS1_
; %bb.0:
	s_load_dword s0, s[4:5], 0x8
	s_load_dwordx8 s[8:15], s[4:5], 0x10
	v_lshlrev_b32_e32 v14, 3, v0
	s_waitcnt lgkmcnt(0)
	s_mul_i32 s6, s6, s0
	v_add_u32_e32 v2, s6, v0
	v_ashrrev_i32_e32 v3, 31, v2
	v_lshlrev_b64 v[4:5], 3, v[2:3]
	v_mov_b32_e32 v1, s9
	v_add_co_u32_e32 v6, vcc, s8, v4
	v_add_u32_e32 v2, 64, v2
	v_mov_b32_e32 v3, 0
	v_addc_co_u32_e32 v7, vcc, v1, v5, vcc
	v_lshlrev_b64 v[8:9], 3, v[2:3]
	v_add_co_u32_e32 v2, vcc, s8, v8
	v_addc_co_u32_e32 v3, vcc, v1, v9, vcc
	global_load_dwordx2 v[10:11], v[6:7], off
	global_load_dwordx2 v[12:13], v[2:3], off
	v_mov_b32_e32 v1, s11
	v_add_co_u32_e32 v2, vcc, s10, v4
	v_addc_co_u32_e32 v3, vcc, v1, v5, vcc
	v_add_co_u32_e32 v6, vcc, s10, v8
	v_addc_co_u32_e32 v7, vcc, v1, v9, vcc
	global_load_dwordx2 v[16:17], v[2:3], off
	global_load_dwordx2 v[18:19], v[6:7], off
	v_mov_b32_e32 v1, s13
	v_add_co_u32_e32 v2, vcc, s12, v4
	v_addc_co_u32_e32 v3, vcc, v1, v5, vcc
	;; [unrolled: 7-line block ×3, first 2 shown]
	v_add_co_u32_e32 v4, vcc, s14, v8
	v_addc_co_u32_e32 v5, vcc, v1, v9, vcc
	global_load_dwordx2 v[6:7], v[2:3], off
	global_load_dwordx2 v[8:9], v[4:5], off
	v_cmp_gt_u32_e64 s[0:1], 64, v0
	v_lshlrev_b32_e32 v1, 1, v0
	s_waitcnt vmcnt(6)
	ds_write2st64_b64 v14, v[10:11], v[12:13] offset1:1
	s_waitcnt vmcnt(4)
	ds_write2st64_b64 v14, v[16:17], v[18:19] offset0:2 offset1:3
	s_waitcnt vmcnt(2)
	ds_write2st64_b64 v14, v[20:21], v[22:23] offset0:4 offset1:5
	;; [unrolled: 2-line block ×3, first 2 shown]
	s_waitcnt lgkmcnt(0)
	; wave barrier
	s_waitcnt lgkmcnt(0)
	s_and_saveexec_b64 s[2:3], s[0:1]
	s_cbranch_execz .LBB27_2
; %bb.1:
	v_or_b32_e32 v6, 0x400, v14
	v_add_u32_e32 v15, v14, v14
	v_add_u32_e32 v38, v6, v14
	ds_read_b128 v[6:9], v15
	ds_read_b128 v[10:13], v38
	v_min_u32_e32 v19, 0x7d, v1
	v_or_b32_e32 v18, 0x800, v14
	v_lshlrev_b32_e32 v40, 3, v19
	v_add_u32_e32 v39, v18, v14
	s_waitcnt lgkmcnt(0)
	v_div_scale_f64 v[24:25], s[4:5], v[10:11], v[10:11], v[8:9]
	v_rcp_f64_e32 v[28:29], v[24:25]
	v_or_b32_e32 v34, 0x1000, v14
	v_add_u32_e32 v41, v34, v14
	v_div_scale_f64 v[26:27], vcc, v[8:9], v[10:11], v[8:9]
	v_fma_f64 v[16:17], -v[24:25], v[28:29], 1.0
	v_fmac_f64_e32 v[28:29], v[28:29], v[16:17]
	v_fma_f64 v[16:17], -v[24:25], v[28:29], 1.0
	v_fmac_f64_e32 v[28:29], v[28:29], v[16:17]
	ds_read2_b64 v[16:19], v40 offset0:2 offset1:130
	ds_read_b128 v[20:23], v39
	v_mul_f64 v[30:31], v[26:27], v[28:29]
	v_fma_f64 v[32:33], -v[24:25], v[30:31], v[26:27]
	v_div_fmas_f64 v[28:29], v[32:33], v[28:29], v[30:31]
	v_div_fixup_f64 v[28:29], v[28:29], v[10:11], v[8:9]
	s_waitcnt lgkmcnt(0)
	v_div_scale_f64 v[34:35], s[4:5], v[18:19], v[18:19], v[22:23]
	v_rcp_f64_e32 v[36:37], v[34:35]
	ds_read_b128 v[24:27], v41
	v_fma_f64 v[12:13], -v[28:29], v[20:21], v[12:13]
	v_mul_f64 v[6:7], v[28:29], -v[6:7]
	v_fma_f64 v[8:9], -v[34:35], v[36:37], 1.0
	v_fmac_f64_e32 v[36:37], v[36:37], v[8:9]
	v_fma_f64 v[8:9], -v[34:35], v[36:37], 1.0
	v_fmac_f64_e32 v[36:37], v[36:37], v[8:9]
	v_div_scale_f64 v[8:9], vcc, v[22:23], v[18:19], v[22:23]
	v_mul_f64 v[10:11], v[8:9], v[36:37]
	v_fma_f64 v[8:9], -v[34:35], v[10:11], v[8:9]
	ds_write_b64 v15, v[6:7] offset:8
	s_nop 0
	v_div_fmas_f64 v[8:9], v[8:9], v[36:37], v[10:11]
	v_div_fixup_f64 v[18:19], v[8:9], v[18:19], v[22:23]
	v_add_u32_e32 v8, 16, v40
	ds_read2st64_b64 v[8:11], v8 offset0:4 offset1:8
	v_fma_f64 v[12:13], -v[18:19], v[16:17], v[12:13]
	ds_write_b64 v38, v[12:13] offset:8
	s_waitcnt lgkmcnt(3)
	v_fma_f64 v[12:13], -v[28:29], v[24:25], v[26:27]
	s_waitcnt lgkmcnt(1)
	v_fma_f64 v[10:11], -v[18:19], v[10:11], v[12:13]
	v_mul_f64 v[6:7], v[18:19], -v[8:9]
	ds_write_b64 v41, v[10:11] offset:8
	ds_write_b64 v39, v[6:7] offset:8
.LBB27_2:
	s_or_b64 exec, exec, s[2:3]
	v_lshlrev_b32_e32 v15, 4, v0
	s_waitcnt lgkmcnt(0)
	; wave barrier
	s_waitcnt lgkmcnt(0)
	s_and_saveexec_b64 s[2:3], s[0:1]
	s_cbranch_execz .LBB27_4
; %bb.3:
	ds_read2_b64 v[6:9], v15 offset0:1 offset1:129
	v_add_u32_e32 v10, 8, v15
	ds_read2st64_b64 v[10:13], v10 offset0:4 offset1:8
	s_waitcnt lgkmcnt(1)
	ds_write2st64_b64 v14, v[6:7], v[8:9] offset0:10 offset1:11
	s_waitcnt lgkmcnt(1)
	ds_write2st64_b64 v14, v[10:11], v[12:13] offset0:12 offset1:14
.LBB27_4:
	s_or_b64 exec, exec, s[2:3]
	v_or_b32_e32 v17, 0x1400, v14
	v_or_b32_e32 v19, 0x1800, v14
	;; [unrolled: 1-line block ×4, first 2 shown]
	s_waitcnt lgkmcnt(0)
	; wave barrier
	s_waitcnt lgkmcnt(0)
                                        ; implicit-def: $vgpr8_vgpr9
                                        ; implicit-def: $vgpr12_vgpr13
                                        ; implicit-def: $vgpr6_vgpr7
                                        ; implicit-def: $vgpr10_vgpr11
	s_and_saveexec_b64 s[2:3], s[0:1]
	s_cbranch_execz .LBB27_6
; %bb.5:
	v_max_u32_e32 v6, 1, v0
	v_lshlrev_b32_e32 v6, 3, v6
	v_add_u32_e32 v38, 0x1f8, v6
	ds_read2st64_b64 v[10:13], v38 offset0:9 offset1:10
	ds_read_b64 v[20:21], v17
	ds_read_b64 v[28:29], v19
	;; [unrolled: 1-line block ×4, first 2 shown]
	v_min_u32_e32 v6, 62, v0
	s_waitcnt lgkmcnt(3)
	v_div_scale_f64 v[22:23], s[4:5], v[12:13], v[12:13], v[20:21]
	v_rcp_f64_e32 v[24:25], v[22:23]
	v_lshlrev_b32_e32 v8, 3, v6
	v_add_u32_e32 v39, 8, v8
	v_div_scale_f64 v[26:27], vcc, v[20:21], v[12:13], v[20:21]
	v_fma_f64 v[6:7], -v[22:23], v[24:25], 1.0
	v_fmac_f64_e32 v[24:25], v[24:25], v[6:7]
	v_fma_f64 v[6:7], -v[22:23], v[24:25], 1.0
	v_fmac_f64_e32 v[24:25], v[24:25], v[6:7]
	ds_read2st64_b64 v[6:9], v39 offset0:10 offset1:11
	v_mul_f64 v[34:35], v[26:27], v[24:25]
	v_fma_f64 v[22:23], -v[22:23], v[34:35], v[26:27]
	v_div_fmas_f64 v[22:23], v[22:23], v[24:25], v[34:35]
	v_div_fixup_f64 v[12:13], v[22:23], v[12:13], v[20:21]
	s_waitcnt lgkmcnt(0)
	v_div_scale_f64 v[26:27], s[4:5], v[8:9], v[8:9], v[28:29]
	v_rcp_f64_e32 v[36:37], v[26:27]
	v_mul_f64 v[10:11], v[12:13], -v[10:11]
	v_fma_f64 v[20:21], -v[26:27], v[36:37], 1.0
	v_fmac_f64_e32 v[36:37], v[36:37], v[20:21]
	v_fma_f64 v[20:21], -v[26:27], v[36:37], 1.0
	v_fmac_f64_e32 v[36:37], v[36:37], v[20:21]
	v_div_scale_f64 v[20:21], vcc, v[28:29], v[8:9], v[28:29]
	v_mul_f64 v[24:25], v[20:21], v[36:37]
	v_fma_f64 v[26:27], -v[26:27], v[24:25], v[20:21]
	ds_read2st64_b64 v[20:23], v38 offset0:11 offset1:13
	s_nop 0
	v_div_fmas_f64 v[34:35], v[26:27], v[36:37], v[24:25]
	ds_read2st64_b64 v[24:27], v39 offset0:12 offset1:14
	v_div_fixup_f64 v[28:29], v[34:35], v[8:9], v[28:29]
	s_waitcnt lgkmcnt(1)
	v_fma_f64 v[8:9], -v[12:13], v[20:21], v[30:31]
	v_fma_f64 v[6:7], -v[28:29], v[6:7], v[8:9]
	;; [unrolled: 1-line block ×3, first 2 shown]
	s_waitcnt lgkmcnt(0)
	v_fma_f64 v[8:9], -v[28:29], v[26:27], v[8:9]
	v_mul_f64 v[12:13], v[28:29], -v[24:25]
.LBB27_6:
	s_or_b64 exec, exec, s[2:3]
	s_waitcnt lgkmcnt(0)
	; wave barrier
	s_waitcnt lgkmcnt(0)
	s_and_saveexec_b64 s[2:3], s[0:1]
	s_cbranch_execz .LBB27_8
; %bb.7:
	ds_write_b64 v18, v[6:7]
	ds_write_b64 v16, v[8:9]
	;; [unrolled: 1-line block ×4, first 2 shown]
.LBB27_8:
	s_or_b64 exec, exec, s[2:3]
	s_waitcnt lgkmcnt(0)
	; wave barrier
	s_waitcnt lgkmcnt(0)
	s_and_saveexec_b64 s[2:3], s[0:1]
	s_cbranch_execz .LBB27_10
; %bb.9:
	v_max_u32_e32 v6, 2, v0
	v_lshlrev_b32_e32 v6, 3, v6
	v_add_u32_e32 v38, 0x1f0, v6
	ds_read2st64_b64 v[10:13], v38 offset0:9 offset1:10
	ds_read_b64 v[20:21], v17
	ds_read_b64 v[28:29], v19
	;; [unrolled: 1-line block ×4, first 2 shown]
	v_min_u32_e32 v6, 61, v0
	s_waitcnt lgkmcnt(3)
	v_div_scale_f64 v[22:23], s[4:5], v[12:13], v[12:13], v[20:21]
	v_rcp_f64_e32 v[24:25], v[22:23]
	v_lshlrev_b32_e32 v8, 3, v6
	v_add_u32_e32 v39, 16, v8
	v_div_scale_f64 v[26:27], vcc, v[20:21], v[12:13], v[20:21]
	v_fma_f64 v[6:7], -v[22:23], v[24:25], 1.0
	v_fmac_f64_e32 v[24:25], v[24:25], v[6:7]
	v_fma_f64 v[6:7], -v[22:23], v[24:25], 1.0
	v_fmac_f64_e32 v[24:25], v[24:25], v[6:7]
	ds_read2st64_b64 v[6:9], v39 offset0:10 offset1:11
	v_mul_f64 v[34:35], v[26:27], v[24:25]
	v_fma_f64 v[22:23], -v[22:23], v[34:35], v[26:27]
	v_div_fmas_f64 v[22:23], v[22:23], v[24:25], v[34:35]
	v_div_fixup_f64 v[12:13], v[22:23], v[12:13], v[20:21]
	s_waitcnt lgkmcnt(0)
	v_div_scale_f64 v[26:27], s[4:5], v[8:9], v[8:9], v[28:29]
	v_rcp_f64_e32 v[36:37], v[26:27]
	v_mul_f64 v[10:11], v[12:13], -v[10:11]
	v_fma_f64 v[20:21], -v[26:27], v[36:37], 1.0
	v_fmac_f64_e32 v[36:37], v[36:37], v[20:21]
	v_fma_f64 v[20:21], -v[26:27], v[36:37], 1.0
	v_fmac_f64_e32 v[36:37], v[36:37], v[20:21]
	v_div_scale_f64 v[20:21], vcc, v[28:29], v[8:9], v[28:29]
	v_mul_f64 v[24:25], v[20:21], v[36:37]
	v_fma_f64 v[26:27], -v[26:27], v[24:25], v[20:21]
	ds_read2st64_b64 v[20:23], v38 offset0:11 offset1:13
	s_nop 0
	v_div_fmas_f64 v[34:35], v[26:27], v[36:37], v[24:25]
	ds_read2st64_b64 v[24:27], v39 offset0:12 offset1:14
	v_div_fixup_f64 v[28:29], v[34:35], v[8:9], v[28:29]
	s_waitcnt lgkmcnt(1)
	v_fma_f64 v[8:9], -v[12:13], v[20:21], v[30:31]
	v_fma_f64 v[6:7], -v[28:29], v[6:7], v[8:9]
	;; [unrolled: 1-line block ×3, first 2 shown]
	s_waitcnt lgkmcnt(0)
	v_fma_f64 v[8:9], -v[28:29], v[26:27], v[8:9]
	v_mul_f64 v[12:13], v[28:29], -v[24:25]
.LBB27_10:
	s_or_b64 exec, exec, s[2:3]
	s_waitcnt lgkmcnt(0)
	; wave barrier
	s_and_saveexec_b64 s[2:3], s[0:1]
	s_cbranch_execz .LBB27_12
; %bb.11:
	ds_write_b64 v18, v[6:7]
	ds_write_b64 v16, v[8:9]
	;; [unrolled: 1-line block ×4, first 2 shown]
.LBB27_12:
	s_or_b64 exec, exec, s[2:3]
	s_waitcnt lgkmcnt(0)
	; wave barrier
	s_waitcnt lgkmcnt(0)
	s_and_saveexec_b64 s[2:3], s[0:1]
	s_cbranch_execz .LBB27_14
; %bb.13:
	v_max_u32_e32 v6, 4, v0
	v_lshlrev_b32_e32 v6, 3, v6
	v_add_u32_e32 v38, 0x1e0, v6
	ds_read2st64_b64 v[10:13], v38 offset0:9 offset1:10
	ds_read_b64 v[20:21], v17
	ds_read_b64 v[28:29], v19
	;; [unrolled: 1-line block ×4, first 2 shown]
	v_min_u32_e32 v6, 59, v0
	s_waitcnt lgkmcnt(3)
	v_div_scale_f64 v[22:23], s[4:5], v[12:13], v[12:13], v[20:21]
	v_rcp_f64_e32 v[24:25], v[22:23]
	v_lshlrev_b32_e32 v8, 3, v6
	v_add_u32_e32 v39, 32, v8
	v_div_scale_f64 v[26:27], vcc, v[20:21], v[12:13], v[20:21]
	v_fma_f64 v[6:7], -v[22:23], v[24:25], 1.0
	v_fmac_f64_e32 v[24:25], v[24:25], v[6:7]
	v_fma_f64 v[6:7], -v[22:23], v[24:25], 1.0
	v_fmac_f64_e32 v[24:25], v[24:25], v[6:7]
	ds_read2st64_b64 v[6:9], v39 offset0:10 offset1:11
	v_mul_f64 v[34:35], v[26:27], v[24:25]
	v_fma_f64 v[22:23], -v[22:23], v[34:35], v[26:27]
	v_div_fmas_f64 v[22:23], v[22:23], v[24:25], v[34:35]
	v_div_fixup_f64 v[12:13], v[22:23], v[12:13], v[20:21]
	s_waitcnt lgkmcnt(0)
	v_div_scale_f64 v[26:27], s[4:5], v[8:9], v[8:9], v[28:29]
	v_rcp_f64_e32 v[36:37], v[26:27]
	v_mul_f64 v[10:11], v[12:13], -v[10:11]
	v_fma_f64 v[20:21], -v[26:27], v[36:37], 1.0
	v_fmac_f64_e32 v[36:37], v[36:37], v[20:21]
	v_fma_f64 v[20:21], -v[26:27], v[36:37], 1.0
	v_fmac_f64_e32 v[36:37], v[36:37], v[20:21]
	v_div_scale_f64 v[20:21], vcc, v[28:29], v[8:9], v[28:29]
	v_mul_f64 v[24:25], v[20:21], v[36:37]
	v_fma_f64 v[26:27], -v[26:27], v[24:25], v[20:21]
	ds_read2st64_b64 v[20:23], v38 offset0:11 offset1:13
	s_nop 0
	v_div_fmas_f64 v[34:35], v[26:27], v[36:37], v[24:25]
	ds_read2st64_b64 v[24:27], v39 offset0:12 offset1:14
	v_div_fixup_f64 v[28:29], v[34:35], v[8:9], v[28:29]
	s_waitcnt lgkmcnt(1)
	v_fma_f64 v[8:9], -v[12:13], v[20:21], v[30:31]
	v_fma_f64 v[6:7], -v[28:29], v[6:7], v[8:9]
	;; [unrolled: 1-line block ×3, first 2 shown]
	s_waitcnt lgkmcnt(0)
	v_fma_f64 v[8:9], -v[28:29], v[26:27], v[8:9]
	v_mul_f64 v[12:13], v[28:29], -v[24:25]
.LBB27_14:
	s_or_b64 exec, exec, s[2:3]
	s_waitcnt lgkmcnt(0)
	; wave barrier
	s_and_saveexec_b64 s[2:3], s[0:1]
	s_cbranch_execz .LBB27_16
; %bb.15:
	ds_write_b64 v18, v[6:7]
	ds_write_b64 v16, v[8:9]
	;; [unrolled: 1-line block ×4, first 2 shown]
.LBB27_16:
	s_or_b64 exec, exec, s[2:3]
	s_waitcnt lgkmcnt(0)
	; wave barrier
	s_waitcnt lgkmcnt(0)
	s_and_saveexec_b64 s[2:3], s[0:1]
	s_cbranch_execz .LBB27_18
; %bb.17:
	v_max_u32_e32 v6, 8, v0
	v_lshlrev_b32_e32 v6, 3, v6
	v_add_u32_e32 v38, 0x1c0, v6
	ds_read2st64_b64 v[10:13], v38 offset0:9 offset1:10
	ds_read_b64 v[20:21], v17
	ds_read_b64 v[28:29], v19
	;; [unrolled: 1-line block ×4, first 2 shown]
	v_min_u32_e32 v6, 55, v0
	s_waitcnt lgkmcnt(3)
	v_div_scale_f64 v[22:23], s[4:5], v[12:13], v[12:13], v[20:21]
	v_rcp_f64_e32 v[24:25], v[22:23]
	v_lshlrev_b32_e32 v8, 3, v6
	v_add_u32_e32 v39, 64, v8
	v_div_scale_f64 v[26:27], vcc, v[20:21], v[12:13], v[20:21]
	v_fma_f64 v[6:7], -v[22:23], v[24:25], 1.0
	v_fmac_f64_e32 v[24:25], v[24:25], v[6:7]
	v_fma_f64 v[6:7], -v[22:23], v[24:25], 1.0
	v_fmac_f64_e32 v[24:25], v[24:25], v[6:7]
	ds_read2st64_b64 v[6:9], v39 offset0:10 offset1:11
	v_mul_f64 v[34:35], v[26:27], v[24:25]
	v_fma_f64 v[22:23], -v[22:23], v[34:35], v[26:27]
	v_div_fmas_f64 v[22:23], v[22:23], v[24:25], v[34:35]
	v_div_fixup_f64 v[12:13], v[22:23], v[12:13], v[20:21]
	s_waitcnt lgkmcnt(0)
	v_div_scale_f64 v[26:27], s[4:5], v[8:9], v[8:9], v[28:29]
	v_rcp_f64_e32 v[36:37], v[26:27]
	v_mul_f64 v[10:11], v[12:13], -v[10:11]
	v_fma_f64 v[20:21], -v[26:27], v[36:37], 1.0
	v_fmac_f64_e32 v[36:37], v[36:37], v[20:21]
	v_fma_f64 v[20:21], -v[26:27], v[36:37], 1.0
	v_fmac_f64_e32 v[36:37], v[36:37], v[20:21]
	v_div_scale_f64 v[20:21], vcc, v[28:29], v[8:9], v[28:29]
	v_mul_f64 v[24:25], v[20:21], v[36:37]
	v_fma_f64 v[26:27], -v[26:27], v[24:25], v[20:21]
	ds_read2st64_b64 v[20:23], v38 offset0:11 offset1:13
	s_nop 0
	v_div_fmas_f64 v[34:35], v[26:27], v[36:37], v[24:25]
	ds_read2st64_b64 v[24:27], v39 offset0:12 offset1:14
	v_div_fixup_f64 v[28:29], v[34:35], v[8:9], v[28:29]
	s_waitcnt lgkmcnt(1)
	v_fma_f64 v[8:9], -v[12:13], v[20:21], v[30:31]
	v_fma_f64 v[6:7], -v[28:29], v[6:7], v[8:9]
	v_fma_f64 v[8:9], -v[12:13], v[22:23], v[32:33]
	s_waitcnt lgkmcnt(0)
	v_fma_f64 v[8:9], -v[28:29], v[26:27], v[8:9]
	v_mul_f64 v[12:13], v[28:29], -v[24:25]
.LBB27_18:
	s_or_b64 exec, exec, s[2:3]
	s_waitcnt lgkmcnt(0)
	; wave barrier
	s_and_saveexec_b64 s[2:3], s[0:1]
	s_cbranch_execz .LBB27_20
; %bb.19:
	ds_write_b64 v18, v[6:7]
	ds_write_b64 v16, v[8:9]
	;; [unrolled: 1-line block ×4, first 2 shown]
.LBB27_20:
	s_or_b64 exec, exec, s[2:3]
	s_waitcnt lgkmcnt(0)
	; wave barrier
	s_waitcnt lgkmcnt(0)
	s_and_saveexec_b64 s[2:3], s[0:1]
	s_cbranch_execz .LBB27_22
; %bb.21:
	v_max_u32_e32 v6, 16, v0
	v_lshlrev_b32_e32 v6, 3, v6
	v_add_u32_e32 v38, 0x180, v6
	ds_read2st64_b64 v[10:13], v38 offset0:9 offset1:10
	ds_read_b64 v[20:21], v17
	ds_read_b64 v[28:29], v19
	;; [unrolled: 1-line block ×4, first 2 shown]
	v_min_u32_e32 v6, 47, v0
	s_waitcnt lgkmcnt(3)
	v_div_scale_f64 v[22:23], s[4:5], v[12:13], v[12:13], v[20:21]
	v_rcp_f64_e32 v[24:25], v[22:23]
	v_lshlrev_b32_e32 v8, 3, v6
	v_add_u32_e32 v39, 0x80, v8
	v_div_scale_f64 v[26:27], vcc, v[20:21], v[12:13], v[20:21]
	v_fma_f64 v[6:7], -v[22:23], v[24:25], 1.0
	v_fmac_f64_e32 v[24:25], v[24:25], v[6:7]
	v_fma_f64 v[6:7], -v[22:23], v[24:25], 1.0
	v_fmac_f64_e32 v[24:25], v[24:25], v[6:7]
	ds_read2st64_b64 v[6:9], v39 offset0:10 offset1:11
	v_mul_f64 v[34:35], v[26:27], v[24:25]
	v_fma_f64 v[22:23], -v[22:23], v[34:35], v[26:27]
	v_div_fmas_f64 v[22:23], v[22:23], v[24:25], v[34:35]
	v_div_fixup_f64 v[12:13], v[22:23], v[12:13], v[20:21]
	s_waitcnt lgkmcnt(0)
	v_div_scale_f64 v[26:27], s[4:5], v[8:9], v[8:9], v[28:29]
	v_rcp_f64_e32 v[36:37], v[26:27]
	v_mul_f64 v[10:11], v[12:13], -v[10:11]
	v_fma_f64 v[20:21], -v[26:27], v[36:37], 1.0
	v_fmac_f64_e32 v[36:37], v[36:37], v[20:21]
	v_fma_f64 v[20:21], -v[26:27], v[36:37], 1.0
	v_fmac_f64_e32 v[36:37], v[36:37], v[20:21]
	v_div_scale_f64 v[20:21], vcc, v[28:29], v[8:9], v[28:29]
	v_mul_f64 v[24:25], v[20:21], v[36:37]
	v_fma_f64 v[26:27], -v[26:27], v[24:25], v[20:21]
	ds_read2st64_b64 v[20:23], v38 offset0:11 offset1:13
	s_nop 0
	v_div_fmas_f64 v[34:35], v[26:27], v[36:37], v[24:25]
	ds_read2st64_b64 v[24:27], v39 offset0:12 offset1:14
	v_div_fixup_f64 v[28:29], v[34:35], v[8:9], v[28:29]
	s_waitcnt lgkmcnt(1)
	v_fma_f64 v[8:9], -v[12:13], v[20:21], v[30:31]
	v_fma_f64 v[6:7], -v[28:29], v[6:7], v[8:9]
	;; [unrolled: 1-line block ×3, first 2 shown]
	s_waitcnt lgkmcnt(0)
	v_fma_f64 v[8:9], -v[28:29], v[26:27], v[8:9]
	v_mul_f64 v[12:13], v[28:29], -v[24:25]
.LBB27_22:
	s_or_b64 exec, exec, s[2:3]
	s_waitcnt lgkmcnt(0)
	; wave barrier
	s_and_saveexec_b64 s[2:3], s[0:1]
	s_cbranch_execz .LBB27_24
; %bb.23:
	ds_write_b64 v18, v[6:7]
	ds_write_b64 v16, v[8:9]
	;; [unrolled: 1-line block ×4, first 2 shown]
.LBB27_24:
	s_or_b64 exec, exec, s[2:3]
	v_cmp_gt_u32_e32 vcc, 32, v0
	s_waitcnt lgkmcnt(0)
	; wave barrier
	s_waitcnt lgkmcnt(0)
	s_and_saveexec_b64 s[2:3], vcc
	s_cbranch_execz .LBB27_26
; %bb.25:
	ds_read_b64 v[20:21], v19
	ds_read_b64 v[22:23], v17 offset:256
	ds_read2_b64 v[6:9], v18 offset1:32
	s_waitcnt lgkmcnt(1)
	v_mul_f64 v[10:11], v[20:21], v[22:23]
	s_waitcnt lgkmcnt(0)
	v_fma_f64 v[18:19], v[8:9], v[6:7], -v[10:11]
	v_div_scale_f64 v[24:25], s[4:5], v[18:19], v[18:19], 1.0
	v_rcp_f64_e32 v[26:27], v[24:25]
	ds_read2_b64 v[10:13], v16 offset1:32
	v_div_scale_f64 v[16:17], vcc, 1.0, v[18:19], 1.0
	v_fma_f64 v[28:29], -v[24:25], v[26:27], 1.0
	v_fmac_f64_e32 v[26:27], v[26:27], v[28:29]
	v_fma_f64 v[28:29], -v[24:25], v[26:27], 1.0
	v_fmac_f64_e32 v[26:27], v[26:27], v[28:29]
	v_mul_f64 v[28:29], v[16:17], v[26:27]
	v_fma_f64 v[16:17], -v[24:25], v[28:29], v[16:17]
	v_div_fmas_f64 v[16:17], v[16:17], v[26:27], v[28:29]
	v_div_fixup_f64 v[16:17], v[16:17], v[18:19], 1.0
	s_waitcnt lgkmcnt(0)
	v_mul_f64 v[18:19], v[20:21], v[12:13]
	v_fma_f64 v[8:9], v[8:9], v[10:11], -v[18:19]
	v_mul_f64 v[10:11], v[22:23], v[10:11]
	v_fma_f64 v[6:7], v[6:7], v[12:13], -v[10:11]
	v_mul_f64 v[8:9], v[16:17], v[8:9]
	v_mul_f64 v[6:7], v[16:17], v[6:7]
	v_add_u32_e32 v10, 0x1800, v14
	ds_write2_b64 v10, v[8:9], v[6:7] offset0:64 offset1:96
.LBB27_26:
	s_or_b64 exec, exec, s[2:3]
	s_waitcnt lgkmcnt(0)
	; wave barrier
	s_waitcnt lgkmcnt(0)
	s_and_saveexec_b64 s[2:3], s[0:1]
	s_cbranch_execz .LBB27_28
; %bb.27:
	ds_read_b64 v[6:7], v14 offset:6656
	s_waitcnt lgkmcnt(0)
	ds_write_b64 v15, v[6:7] offset:3080
.LBB27_28:
	s_or_b64 exec, exec, s[2:3]
	s_waitcnt lgkmcnt(0)
	; wave barrier
	s_waitcnt lgkmcnt(0)
	s_and_saveexec_b64 s[2:3], s[0:1]
	s_cbranch_execz .LBB27_34
; %bb.29:
	v_cmp_ne_u32_e32 vcc, 0, v0
	v_lshlrev_b32_e32 v6, 3, v1
                                        ; implicit-def: $vgpr0_vgpr1
	s_and_saveexec_b64 s[0:1], vcc
	s_xor_b64 s[0:1], exec, s[0:1]
	s_cbranch_execz .LBB27_31
; %bb.30:
	v_add_u32_e32 v0, 0xa00, v6
	ds_read2_b64 v[8:11], v0 offset0:63 offset1:192
	ds_read_b64 v[0:1], v6
	s_waitcnt lgkmcnt(0)
	v_fma_f64 v[0:1], -v[0:1], v[8:9], v[10:11]
.LBB27_31:
	s_andn2_saveexec_b64 s[0:1], s[0:1]
	s_cbranch_execz .LBB27_33
; %bb.32:
	ds_read_b64 v[0:1], v6 offset:4096
.LBB27_33:
	s_or_b64 exec, exec, s[0:1]
	ds_read2st64_b64 v[8:11], v6 offset0:2 offset1:4
	ds_read_b64 v[12:13], v6 offset:3080
	s_waitcnt lgkmcnt(0)
	v_fma_f64 v[0:1], -v[10:11], v[12:13], v[0:1]
	v_div_scale_f64 v[10:11], s[0:1], v[8:9], v[8:9], v[0:1]
	v_rcp_f64_e32 v[12:13], v[10:11]
	v_div_scale_f64 v[16:17], vcc, v[0:1], v[8:9], v[0:1]
	v_fma_f64 v[18:19], -v[10:11], v[12:13], 1.0
	v_fmac_f64_e32 v[12:13], v[12:13], v[18:19]
	v_fma_f64 v[18:19], -v[10:11], v[12:13], 1.0
	v_fmac_f64_e32 v[12:13], v[12:13], v[18:19]
	v_mul_f64 v[18:19], v[16:17], v[12:13]
	v_fma_f64 v[10:11], -v[10:11], v[18:19], v[16:17]
	v_div_fmas_f64 v[10:11], v[10:11], v[12:13], v[18:19]
	v_div_fixup_f64 v[0:1], v[10:11], v[8:9], v[0:1]
	ds_write_b64 v6, v[0:1] offset:3072
.LBB27_34:
	s_or_b64 exec, exec, s[2:3]
	s_waitcnt lgkmcnt(0)
	; wave barrier
	s_waitcnt lgkmcnt(0)
	ds_read2st64_b64 v[6:9], v14 offset0:6 offset1:7
	s_waitcnt lgkmcnt(0)
	global_store_dwordx2 v[2:3], v[6:7], off
	global_store_dwordx2 v[4:5], v[8:9], off
	s_endpgm
	.section	.rodata,"a",@progbits
	.p2align	6, 0x0
	.amdhsa_kernel _ZN9rocsparseL51gtsv_nopivot_strided_batch_crpcr_pow2_shared_kernelILj64ELj64EdEEviiiPKT1_S3_S3_PS1_
		.amdhsa_group_segment_fixed_size 7680
		.amdhsa_private_segment_fixed_size 0
		.amdhsa_kernarg_size 48
		.amdhsa_user_sgpr_count 6
		.amdhsa_user_sgpr_private_segment_buffer 1
		.amdhsa_user_sgpr_dispatch_ptr 0
		.amdhsa_user_sgpr_queue_ptr 0
		.amdhsa_user_sgpr_kernarg_segment_ptr 1
		.amdhsa_user_sgpr_dispatch_id 0
		.amdhsa_user_sgpr_flat_scratch_init 0
		.amdhsa_user_sgpr_kernarg_preload_length 0
		.amdhsa_user_sgpr_kernarg_preload_offset 0
		.amdhsa_user_sgpr_private_segment_size 0
		.amdhsa_uses_dynamic_stack 0
		.amdhsa_system_sgpr_private_segment_wavefront_offset 0
		.amdhsa_system_sgpr_workgroup_id_x 1
		.amdhsa_system_sgpr_workgroup_id_y 0
		.amdhsa_system_sgpr_workgroup_id_z 0
		.amdhsa_system_sgpr_workgroup_info 0
		.amdhsa_system_vgpr_workitem_id 0
		.amdhsa_next_free_vgpr 42
		.amdhsa_next_free_sgpr 16
		.amdhsa_accum_offset 44
		.amdhsa_reserve_vcc 1
		.amdhsa_reserve_flat_scratch 0
		.amdhsa_float_round_mode_32 0
		.amdhsa_float_round_mode_16_64 0
		.amdhsa_float_denorm_mode_32 3
		.amdhsa_float_denorm_mode_16_64 3
		.amdhsa_dx10_clamp 1
		.amdhsa_ieee_mode 1
		.amdhsa_fp16_overflow 0
		.amdhsa_tg_split 0
		.amdhsa_exception_fp_ieee_invalid_op 0
		.amdhsa_exception_fp_denorm_src 0
		.amdhsa_exception_fp_ieee_div_zero 0
		.amdhsa_exception_fp_ieee_overflow 0
		.amdhsa_exception_fp_ieee_underflow 0
		.amdhsa_exception_fp_ieee_inexact 0
		.amdhsa_exception_int_div_zero 0
	.end_amdhsa_kernel
	.section	.text._ZN9rocsparseL51gtsv_nopivot_strided_batch_crpcr_pow2_shared_kernelILj64ELj64EdEEviiiPKT1_S3_S3_PS1_,"axG",@progbits,_ZN9rocsparseL51gtsv_nopivot_strided_batch_crpcr_pow2_shared_kernelILj64ELj64EdEEviiiPKT1_S3_S3_PS1_,comdat
.Lfunc_end27:
	.size	_ZN9rocsparseL51gtsv_nopivot_strided_batch_crpcr_pow2_shared_kernelILj64ELj64EdEEviiiPKT1_S3_S3_PS1_, .Lfunc_end27-_ZN9rocsparseL51gtsv_nopivot_strided_batch_crpcr_pow2_shared_kernelILj64ELj64EdEEviiiPKT1_S3_S3_PS1_
                                        ; -- End function
	.section	.AMDGPU.csdata,"",@progbits
; Kernel info:
; codeLenInByte = 3160
; NumSgprs: 20
; NumVgprs: 42
; NumAgprs: 0
; TotalNumVgprs: 42
; ScratchSize: 0
; MemoryBound: 0
; FloatMode: 240
; IeeeMode: 1
; LDSByteSize: 7680 bytes/workgroup (compile time only)
; SGPRBlocks: 2
; VGPRBlocks: 5
; NumSGPRsForWavesPerEU: 20
; NumVGPRsForWavesPerEU: 42
; AccumOffset: 44
; Occupancy: 2
; WaveLimiterHint : 0
; COMPUTE_PGM_RSRC2:SCRATCH_EN: 0
; COMPUTE_PGM_RSRC2:USER_SGPR: 6
; COMPUTE_PGM_RSRC2:TRAP_HANDLER: 0
; COMPUTE_PGM_RSRC2:TGID_X_EN: 1
; COMPUTE_PGM_RSRC2:TGID_Y_EN: 0
; COMPUTE_PGM_RSRC2:TGID_Z_EN: 0
; COMPUTE_PGM_RSRC2:TIDIG_COMP_CNT: 0
; COMPUTE_PGM_RSRC3_GFX90A:ACCUM_OFFSET: 10
; COMPUTE_PGM_RSRC3_GFX90A:TG_SPLIT: 0
	.section	.text._ZN9rocsparseL51gtsv_nopivot_strided_batch_crpcr_pow2_shared_kernelILj128ELj64EdEEviiiPKT1_S3_S3_PS1_,"axG",@progbits,_ZN9rocsparseL51gtsv_nopivot_strided_batch_crpcr_pow2_shared_kernelILj128ELj64EdEEviiiPKT1_S3_S3_PS1_,comdat
	.globl	_ZN9rocsparseL51gtsv_nopivot_strided_batch_crpcr_pow2_shared_kernelILj128ELj64EdEEviiiPKT1_S3_S3_PS1_ ; -- Begin function _ZN9rocsparseL51gtsv_nopivot_strided_batch_crpcr_pow2_shared_kernelILj128ELj64EdEEviiiPKT1_S3_S3_PS1_
	.p2align	8
	.type	_ZN9rocsparseL51gtsv_nopivot_strided_batch_crpcr_pow2_shared_kernelILj128ELj64EdEEviiiPKT1_S3_S3_PS1_,@function
_ZN9rocsparseL51gtsv_nopivot_strided_batch_crpcr_pow2_shared_kernelILj128ELj64EdEEviiiPKT1_S3_S3_PS1_: ; @_ZN9rocsparseL51gtsv_nopivot_strided_batch_crpcr_pow2_shared_kernelILj128ELj64EdEEviiiPKT1_S3_S3_PS1_
; %bb.0:
	s_load_dword s0, s[4:5], 0x8
	s_load_dwordx8 s[8:15], s[4:5], 0x10
	v_lshlrev_b32_e32 v14, 3, v0
	v_add_u32_e32 v19, 1, v0
	s_waitcnt lgkmcnt(0)
	s_mul_i32 s6, s6, s0
	v_add_u32_e32 v2, s6, v0
	v_ashrrev_i32_e32 v3, 31, v2
	v_lshlrev_b64 v[4:5], 3, v[2:3]
	v_mov_b32_e32 v1, s9
	v_add_co_u32_e32 v6, vcc, s8, v4
	v_add_u32_e32 v2, 0x80, v2
	v_mov_b32_e32 v3, 0
	v_addc_co_u32_e32 v7, vcc, v1, v5, vcc
	v_lshlrev_b64 v[8:9], 3, v[2:3]
	v_add_co_u32_e32 v2, vcc, s8, v8
	v_addc_co_u32_e32 v3, vcc, v1, v9, vcc
	global_load_dwordx2 v[10:11], v[6:7], off
	global_load_dwordx2 v[12:13], v[2:3], off
	v_mov_b32_e32 v1, s11
	v_add_co_u32_e32 v2, vcc, s10, v4
	v_addc_co_u32_e32 v3, vcc, v1, v5, vcc
	v_add_co_u32_e32 v6, vcc, s10, v8
	v_addc_co_u32_e32 v7, vcc, v1, v9, vcc
	global_load_dwordx2 v[16:17], v[2:3], off
	global_load_dwordx2 v[20:21], v[6:7], off
	v_mov_b32_e32 v1, s13
	v_add_co_u32_e32 v2, vcc, s12, v4
	v_addc_co_u32_e32 v3, vcc, v1, v5, vcc
	;; [unrolled: 7-line block ×3, first 2 shown]
	v_add_co_u32_e32 v4, vcc, s14, v8
	v_addc_co_u32_e32 v5, vcc, v1, v9, vcc
	global_load_dwordx2 v[6:7], v[2:3], off
	global_load_dwordx2 v[8:9], v[4:5], off
	s_movk_i32 s0, 0x80
	v_cmp_gt_u32_e64 s[0:1], s0, v0
	s_waitcnt vmcnt(6)
	ds_write2st64_b64 v14, v[10:11], v[12:13] offset1:2
	s_waitcnt vmcnt(4)
	ds_write2st64_b64 v14, v[16:17], v[20:21] offset0:4 offset1:6
	s_waitcnt vmcnt(2)
	ds_write2st64_b64 v14, v[22:23], v[24:25] offset0:8 offset1:10
	;; [unrolled: 2-line block ×3, first 2 shown]
	s_waitcnt lgkmcnt(0)
	s_barrier
	s_and_saveexec_b64 s[2:3], s[0:1]
	s_cbranch_execz .LBB28_2
; %bb.1:
	v_lshlrev_b32_e32 v1, 4, v19
	v_add_u32_e32 v6, -16, v1
	ds_read_b128 v[6:9], v6
	ds_read_b128 v[10:13], v1 offset:2032
	ds_read_b128 v[20:23], v1 offset:4080
	;; [unrolled: 1-line block ×3, first 2 shown]
	v_lshlrev_b32_e32 v15, 1, v19
	v_min_u32_e32 v15, 0xff, v15
	s_waitcnt lgkmcnt(2)
	v_div_scale_f64 v[16:17], s[4:5], v[10:11], v[10:11], v[8:9]
	v_rcp_f64_e32 v[32:33], v[16:17]
	v_lshlrev_b32_e32 v15, 3, v15
	v_div_scale_f64 v[34:35], vcc, v[8:9], v[10:11], v[8:9]
	v_fma_f64 v[28:29], -v[16:17], v[32:33], 1.0
	v_fmac_f64_e32 v[32:33], v[32:33], v[28:29]
	v_fma_f64 v[28:29], -v[16:17], v[32:33], 1.0
	v_fmac_f64_e32 v[32:33], v[32:33], v[28:29]
	ds_read2st64_b64 v[28:31], v15 offset1:4
	v_mul_f64 v[36:37], v[34:35], v[32:33]
	v_fma_f64 v[16:17], -v[16:17], v[36:37], v[34:35]
	v_div_fmas_f64 v[16:17], v[16:17], v[32:33], v[36:37]
	v_div_fixup_f64 v[16:17], v[16:17], v[10:11], v[8:9]
	s_waitcnt lgkmcnt(0)
	v_div_scale_f64 v[34:35], s[4:5], v[30:31], v[30:31], v[22:23]
	v_rcp_f64_e32 v[38:39], v[34:35]
	v_fma_f64 v[12:13], -v[16:17], v[20:21], v[12:13]
	v_fma_f64 v[20:21], -v[16:17], v[24:25], v[26:27]
	v_add_u32_e32 v18, -8, v1
	v_fma_f64 v[8:9], -v[34:35], v[38:39], 1.0
	v_fmac_f64_e32 v[38:39], v[38:39], v[8:9]
	v_fma_f64 v[8:9], -v[34:35], v[38:39], 1.0
	v_fmac_f64_e32 v[38:39], v[38:39], v[8:9]
	v_div_scale_f64 v[8:9], vcc, v[22:23], v[30:31], v[22:23]
	v_mul_f64 v[10:11], v[8:9], v[38:39]
	v_fma_f64 v[8:9], -v[34:35], v[10:11], v[8:9]
	v_mul_f64 v[6:7], v[16:17], -v[6:7]
	s_nop 0
	v_div_fmas_f64 v[32:33], v[8:9], v[38:39], v[10:11]
	ds_read2st64_b64 v[8:11], v15 offset0:8 offset1:16
	v_div_fixup_f64 v[22:23], v[32:33], v[30:31], v[22:23]
	v_fma_f64 v[12:13], -v[22:23], v[28:29], v[12:13]
	ds_write_b64 v18, v[6:7]
	s_waitcnt lgkmcnt(1)
	v_fma_f64 v[10:11], -v[22:23], v[10:11], v[20:21]
	ds_write_b64 v1, v[10:11] offset:8184
	v_mul_f64 v[6:7], v[22:23], -v[8:9]
	v_add_u32_e32 v1, 0x1f8, v1
	ds_write2st64_b64 v1, v[12:13], v[6:7] offset0:3 offset1:7
.LBB28_2:
	s_or_b64 exec, exec, s[2:3]
	v_cmp_gt_u32_e64 s[2:3], 64, v0
	v_lshlrev_b32_e32 v1, 5, v19
	s_waitcnt lgkmcnt(0)
	s_barrier
	s_and_saveexec_b64 s[4:5], s[2:3]
	s_cbranch_execz .LBB28_4
; %bb.3:
	v_add_u32_e32 v15, -8, v1
	ds_read2_b64 v[6:9], v1 offset0:253 offset1:255
	ds_read_b64 v[16:17], v15
	v_subrev_u32_e32 v10, 24, v1
	ds_read_b64 v[32:33], v10
	v_lshl_or_b32 v10, v19, 2, 1
	v_min_u32_e32 v18, 0xff, v10
	s_waitcnt lgkmcnt(1)
	v_div_scale_f64 v[24:25], s[6:7], v[6:7], v[6:7], v[16:17]
	v_rcp_f64_e32 v[26:27], v[24:25]
	v_add_u32_e32 v12, 0x800, v1
	v_lshlrev_b32_e32 v18, 3, v18
	ds_read2st64_b64 v[20:23], v18 offset1:4
	v_fma_f64 v[10:11], -v[24:25], v[26:27], 1.0
	v_fmac_f64_e32 v[26:27], v[26:27], v[10:11]
	v_fma_f64 v[10:11], -v[24:25], v[26:27], 1.0
	v_fmac_f64_e32 v[26:27], v[26:27], v[10:11]
	ds_read2_b64 v[10:13], v12 offset0:253 offset1:255
	v_div_scale_f64 v[28:29], vcc, v[16:17], v[6:7], v[16:17]
	v_mul_f64 v[30:31], v[28:29], v[26:27]
	v_fma_f64 v[24:25], -v[24:25], v[30:31], v[28:29]
	s_waitcnt lgkmcnt(0)
	v_div_scale_f64 v[28:29], s[6:7], v[22:23], v[22:23], v[12:13]
	v_rcp_f64_e32 v[34:35], v[28:29]
	v_div_fmas_f64 v[24:25], v[24:25], v[26:27], v[30:31]
	v_div_fixup_f64 v[6:7], v[24:25], v[6:7], v[16:17]
	v_fma_f64 v[8:9], -v[6:7], v[10:11], v[8:9]
	v_fma_f64 v[16:17], -v[28:29], v[34:35], 1.0
	v_fmac_f64_e32 v[34:35], v[34:35], v[16:17]
	v_fma_f64 v[16:17], -v[28:29], v[34:35], 1.0
	v_fmac_f64_e32 v[34:35], v[34:35], v[16:17]
	v_div_scale_f64 v[16:17], vcc, v[12:13], v[22:23], v[12:13]
	v_mul_f64 v[24:25], v[16:17], v[34:35]
	v_fma_f64 v[16:17], -v[28:29], v[24:25], v[16:17]
	s_nop 1
	v_div_fmas_f64 v[16:17], v[16:17], v[34:35], v[24:25]
	v_add_u32_e32 v24, 0x1800, v1
	ds_read2_b64 v[24:27], v24 offset0:253 offset1:255
	ds_read2st64_b64 v[28:31], v18 offset0:8 offset1:16
	v_div_fixup_f64 v[12:13], v[16:17], v[22:23], v[12:13]
	v_fma_f64 v[8:9], -v[12:13], v[20:21], v[8:9]
	s_waitcnt lgkmcnt(1)
	v_fma_f64 v[10:11], -v[6:7], v[24:25], v[26:27]
	s_waitcnt lgkmcnt(0)
	v_fma_f64 v[10:11], -v[12:13], v[30:31], v[10:11]
	v_mul_f64 v[6:7], v[6:7], -v[32:33]
	ds_write_b64 v1, v[10:11] offset:8184
	ds_write_b64 v15, v[6:7]
	v_mul_f64 v[6:7], v[12:13], -v[28:29]
	v_add_u32_e32 v10, 0x1f8, v1
	ds_write2st64_b64 v10, v[8:9], v[6:7] offset0:3 offset1:7
.LBB28_4:
	s_or_b64 exec, exec, s[4:5]
	s_waitcnt lgkmcnt(0)
	s_barrier
	s_and_saveexec_b64 s[4:5], s[2:3]
	s_cbranch_execz .LBB28_6
; %bb.5:
	v_add_u32_e32 v10, -8, v1
	v_add_u32_e32 v6, 0x1f8, v1
	ds_read2st64_b64 v[6:9], v6 offset0:3 offset1:7
	ds_read_b64 v[10:11], v10
	ds_read_b64 v[12:13], v1 offset:8184
	s_waitcnt lgkmcnt(1)
	ds_write2st64_b64 v14, v[10:11], v[6:7] offset0:20 offset1:21
	s_waitcnt lgkmcnt(1)
	ds_write2st64_b64 v14, v[8:9], v[12:13] offset0:22 offset1:24
.LBB28_6:
	s_or_b64 exec, exec, s[4:5]
	v_or_b32_e32 v16, 0x2800, v14
	v_or_b32_e32 v18, 0x2c00, v14
	v_add_u32_e32 v17, 0x2a00, v14
	v_or_b32_e32 v15, 0x3000, v14
	s_waitcnt lgkmcnt(0)
	s_barrier
	s_waitcnt lgkmcnt(0)
                                        ; implicit-def: $vgpr8_vgpr9
                                        ; implicit-def: $vgpr12_vgpr13
                                        ; implicit-def: $vgpr6_vgpr7
                                        ; implicit-def: $vgpr10_vgpr11
	s_and_saveexec_b64 s[4:5], s[2:3]
	s_cbranch_execz .LBB28_8
; %bb.7:
	v_max_u32_e32 v6, 1, v0
	v_lshlrev_b32_e32 v6, 3, v6
	v_add_u32_e32 v38, 0x1f8, v6
	ds_read2st64_b64 v[10:13], v38 offset0:19 offset1:20
	ds_read_b64 v[20:21], v16
	ds_read_b64 v[28:29], v18
	;; [unrolled: 1-line block ×4, first 2 shown]
	v_min_u32_e32 v6, 63, v19
	s_waitcnt lgkmcnt(3)
	v_div_scale_f64 v[22:23], s[6:7], v[12:13], v[12:13], v[20:21]
	v_rcp_f64_e32 v[24:25], v[22:23]
	v_lshlrev_b32_e32 v19, 3, v6
	v_div_scale_f64 v[26:27], vcc, v[20:21], v[12:13], v[20:21]
	v_fma_f64 v[6:7], -v[22:23], v[24:25], 1.0
	v_fmac_f64_e32 v[24:25], v[24:25], v[6:7]
	v_fma_f64 v[6:7], -v[22:23], v[24:25], 1.0
	v_fmac_f64_e32 v[24:25], v[24:25], v[6:7]
	ds_read2st64_b64 v[6:9], v19 offset0:20 offset1:21
	v_mul_f64 v[34:35], v[26:27], v[24:25]
	v_fma_f64 v[22:23], -v[22:23], v[34:35], v[26:27]
	v_div_fmas_f64 v[22:23], v[22:23], v[24:25], v[34:35]
	v_div_fixup_f64 v[12:13], v[22:23], v[12:13], v[20:21]
	s_waitcnt lgkmcnt(0)
	v_div_scale_f64 v[26:27], s[6:7], v[8:9], v[8:9], v[28:29]
	v_rcp_f64_e32 v[36:37], v[26:27]
	v_mul_f64 v[10:11], v[12:13], -v[10:11]
	v_fma_f64 v[20:21], -v[26:27], v[36:37], 1.0
	v_fmac_f64_e32 v[36:37], v[36:37], v[20:21]
	v_fma_f64 v[20:21], -v[26:27], v[36:37], 1.0
	v_fmac_f64_e32 v[36:37], v[36:37], v[20:21]
	v_div_scale_f64 v[20:21], vcc, v[28:29], v[8:9], v[28:29]
	v_mul_f64 v[24:25], v[20:21], v[36:37]
	v_fma_f64 v[26:27], -v[26:27], v[24:25], v[20:21]
	ds_read2st64_b64 v[20:23], v38 offset0:21 offset1:23
	s_nop 0
	v_div_fmas_f64 v[34:35], v[26:27], v[36:37], v[24:25]
	ds_read2st64_b64 v[24:27], v19 offset0:22 offset1:24
	v_div_fixup_f64 v[28:29], v[34:35], v[8:9], v[28:29]
	s_waitcnt lgkmcnt(1)
	v_fma_f64 v[8:9], -v[12:13], v[20:21], v[30:31]
	v_fma_f64 v[6:7], -v[28:29], v[6:7], v[8:9]
	;; [unrolled: 1-line block ×3, first 2 shown]
	s_waitcnt lgkmcnt(0)
	v_fma_f64 v[8:9], -v[28:29], v[26:27], v[8:9]
	v_mul_f64 v[12:13], v[28:29], -v[24:25]
.LBB28_8:
	s_or_b64 exec, exec, s[4:5]
	s_barrier
	s_and_saveexec_b64 s[4:5], s[2:3]
	s_cbranch_execz .LBB28_10
; %bb.9:
	ds_write_b64 v17, v[6:7]
	ds_write_b64 v15, v[8:9]
	ds_write_b64 v16, v[10:11]
	ds_write_b64 v18, v[12:13]
.LBB28_10:
	s_or_b64 exec, exec, s[4:5]
	s_waitcnt lgkmcnt(0)
	s_barrier
	s_and_saveexec_b64 s[4:5], s[2:3]
	s_cbranch_execz .LBB28_12
; %bb.11:
	v_max_u32_e32 v6, 2, v0
	v_lshlrev_b32_e32 v6, 3, v6
	v_add_u32_e32 v19, 0x1f0, v6
	ds_read2st64_b64 v[10:13], v19 offset0:19 offset1:20
	ds_read_b64 v[20:21], v16
	ds_read_b64 v[28:29], v18
	ds_read_b64 v[30:31], v17
	ds_read_b64 v[32:33], v15
	v_min_u32_e32 v6, 61, v0
	s_waitcnt lgkmcnt(3)
	v_div_scale_f64 v[22:23], s[6:7], v[12:13], v[12:13], v[20:21]
	v_rcp_f64_e32 v[24:25], v[22:23]
	v_lshlrev_b32_e32 v8, 3, v6
	v_add_u32_e32 v38, 16, v8
	v_div_scale_f64 v[26:27], vcc, v[20:21], v[12:13], v[20:21]
	v_fma_f64 v[6:7], -v[22:23], v[24:25], 1.0
	v_fmac_f64_e32 v[24:25], v[24:25], v[6:7]
	v_fma_f64 v[6:7], -v[22:23], v[24:25], 1.0
	v_fmac_f64_e32 v[24:25], v[24:25], v[6:7]
	ds_read2st64_b64 v[6:9], v38 offset0:20 offset1:21
	v_mul_f64 v[34:35], v[26:27], v[24:25]
	v_fma_f64 v[22:23], -v[22:23], v[34:35], v[26:27]
	v_div_fmas_f64 v[22:23], v[22:23], v[24:25], v[34:35]
	v_div_fixup_f64 v[12:13], v[22:23], v[12:13], v[20:21]
	s_waitcnt lgkmcnt(0)
	v_div_scale_f64 v[26:27], s[6:7], v[8:9], v[8:9], v[28:29]
	v_rcp_f64_e32 v[36:37], v[26:27]
	v_mul_f64 v[10:11], v[12:13], -v[10:11]
	v_fma_f64 v[20:21], -v[26:27], v[36:37], 1.0
	v_fmac_f64_e32 v[36:37], v[36:37], v[20:21]
	v_fma_f64 v[20:21], -v[26:27], v[36:37], 1.0
	v_fmac_f64_e32 v[36:37], v[36:37], v[20:21]
	v_div_scale_f64 v[20:21], vcc, v[28:29], v[8:9], v[28:29]
	v_mul_f64 v[24:25], v[20:21], v[36:37]
	v_fma_f64 v[26:27], -v[26:27], v[24:25], v[20:21]
	ds_read2st64_b64 v[20:23], v19 offset0:21 offset1:23
	s_nop 0
	v_div_fmas_f64 v[34:35], v[26:27], v[36:37], v[24:25]
	ds_read2st64_b64 v[24:27], v38 offset0:22 offset1:24
	v_div_fixup_f64 v[28:29], v[34:35], v[8:9], v[28:29]
	s_waitcnt lgkmcnt(1)
	v_fma_f64 v[8:9], -v[12:13], v[20:21], v[30:31]
	v_fma_f64 v[6:7], -v[28:29], v[6:7], v[8:9]
	v_fma_f64 v[8:9], -v[12:13], v[22:23], v[32:33]
	s_waitcnt lgkmcnt(0)
	v_fma_f64 v[8:9], -v[28:29], v[26:27], v[8:9]
	v_mul_f64 v[12:13], v[28:29], -v[24:25]
.LBB28_12:
	s_or_b64 exec, exec, s[4:5]
	s_barrier
	s_and_saveexec_b64 s[4:5], s[2:3]
	s_cbranch_execz .LBB28_14
; %bb.13:
	ds_write_b64 v17, v[6:7]
	ds_write_b64 v15, v[8:9]
	ds_write_b64 v16, v[10:11]
	ds_write_b64 v18, v[12:13]
.LBB28_14:
	s_or_b64 exec, exec, s[4:5]
	s_waitcnt lgkmcnt(0)
	s_barrier
	s_and_saveexec_b64 s[4:5], s[2:3]
	s_cbranch_execz .LBB28_16
; %bb.15:
	v_max_u32_e32 v6, 4, v0
	v_lshlrev_b32_e32 v6, 3, v6
	v_add_u32_e32 v19, 0x1e0, v6
	ds_read2st64_b64 v[10:13], v19 offset0:19 offset1:20
	ds_read_b64 v[20:21], v16
	ds_read_b64 v[28:29], v18
	ds_read_b64 v[30:31], v17
	ds_read_b64 v[32:33], v15
	v_min_u32_e32 v6, 59, v0
	s_waitcnt lgkmcnt(3)
	v_div_scale_f64 v[22:23], s[6:7], v[12:13], v[12:13], v[20:21]
	v_rcp_f64_e32 v[24:25], v[22:23]
	v_lshlrev_b32_e32 v8, 3, v6
	v_add_u32_e32 v38, 32, v8
	v_div_scale_f64 v[26:27], vcc, v[20:21], v[12:13], v[20:21]
	v_fma_f64 v[6:7], -v[22:23], v[24:25], 1.0
	v_fmac_f64_e32 v[24:25], v[24:25], v[6:7]
	v_fma_f64 v[6:7], -v[22:23], v[24:25], 1.0
	v_fmac_f64_e32 v[24:25], v[24:25], v[6:7]
	ds_read2st64_b64 v[6:9], v38 offset0:20 offset1:21
	v_mul_f64 v[34:35], v[26:27], v[24:25]
	v_fma_f64 v[22:23], -v[22:23], v[34:35], v[26:27]
	v_div_fmas_f64 v[22:23], v[22:23], v[24:25], v[34:35]
	v_div_fixup_f64 v[12:13], v[22:23], v[12:13], v[20:21]
	s_waitcnt lgkmcnt(0)
	v_div_scale_f64 v[26:27], s[6:7], v[8:9], v[8:9], v[28:29]
	v_rcp_f64_e32 v[36:37], v[26:27]
	v_mul_f64 v[10:11], v[12:13], -v[10:11]
	v_fma_f64 v[20:21], -v[26:27], v[36:37], 1.0
	v_fmac_f64_e32 v[36:37], v[36:37], v[20:21]
	v_fma_f64 v[20:21], -v[26:27], v[36:37], 1.0
	v_fmac_f64_e32 v[36:37], v[36:37], v[20:21]
	v_div_scale_f64 v[20:21], vcc, v[28:29], v[8:9], v[28:29]
	v_mul_f64 v[24:25], v[20:21], v[36:37]
	v_fma_f64 v[26:27], -v[26:27], v[24:25], v[20:21]
	ds_read2st64_b64 v[20:23], v19 offset0:21 offset1:23
	s_nop 0
	v_div_fmas_f64 v[34:35], v[26:27], v[36:37], v[24:25]
	ds_read2st64_b64 v[24:27], v38 offset0:22 offset1:24
	v_div_fixup_f64 v[28:29], v[34:35], v[8:9], v[28:29]
	s_waitcnt lgkmcnt(1)
	v_fma_f64 v[8:9], -v[12:13], v[20:21], v[30:31]
	v_fma_f64 v[6:7], -v[28:29], v[6:7], v[8:9]
	v_fma_f64 v[8:9], -v[12:13], v[22:23], v[32:33]
	s_waitcnt lgkmcnt(0)
	v_fma_f64 v[8:9], -v[28:29], v[26:27], v[8:9]
	v_mul_f64 v[12:13], v[28:29], -v[24:25]
.LBB28_16:
	;; [unrolled: 64-line block ×4, first 2 shown]
	s_or_b64 exec, exec, s[4:5]
	s_barrier
	s_and_saveexec_b64 s[4:5], s[2:3]
	s_cbranch_execz .LBB28_26
; %bb.25:
	ds_write_b64 v17, v[6:7]
	ds_write_b64 v15, v[8:9]
	;; [unrolled: 1-line block ×4, first 2 shown]
.LBB28_26:
	s_or_b64 exec, exec, s[4:5]
	v_cmp_gt_u32_e32 vcc, 32, v0
	s_waitcnt lgkmcnt(0)
	s_barrier
	s_and_saveexec_b64 s[4:5], vcc
	s_cbranch_execz .LBB28_28
; %bb.27:
	ds_read_b64 v[18:19], v18
	ds_read_b64 v[20:21], v16 offset:256
	ds_read2_b64 v[6:9], v17 offset1:32
	s_waitcnt lgkmcnt(1)
	v_mul_f64 v[10:11], v[18:19], v[20:21]
	s_waitcnt lgkmcnt(0)
	v_fma_f64 v[16:17], v[8:9], v[6:7], -v[10:11]
	v_div_scale_f64 v[22:23], s[6:7], v[16:17], v[16:17], 1.0
	v_rcp_f64_e32 v[24:25], v[22:23]
	ds_read2_b64 v[10:13], v15 offset1:32
	v_div_scale_f64 v[26:27], vcc, 1.0, v[16:17], 1.0
	v_fma_f64 v[28:29], -v[22:23], v[24:25], 1.0
	v_fmac_f64_e32 v[24:25], v[24:25], v[28:29]
	v_fma_f64 v[28:29], -v[22:23], v[24:25], 1.0
	v_fmac_f64_e32 v[24:25], v[24:25], v[28:29]
	v_mul_f64 v[28:29], v[26:27], v[24:25]
	v_fma_f64 v[22:23], -v[22:23], v[28:29], v[26:27]
	s_waitcnt lgkmcnt(0)
	v_mul_f64 v[18:19], v[18:19], v[12:13]
	v_div_fmas_f64 v[22:23], v[22:23], v[24:25], v[28:29]
	v_fma_f64 v[8:9], v[8:9], v[10:11], -v[18:19]
	v_mul_f64 v[10:11], v[20:21], v[10:11]
	v_div_fixup_f64 v[16:17], v[22:23], v[16:17], 1.0
	v_fma_f64 v[6:7], v[6:7], v[12:13], -v[10:11]
	v_mul_f64 v[8:9], v[16:17], v[8:9]
	v_mul_f64 v[6:7], v[16:17], v[6:7]
	v_add_u32_e32 v10, 0x2800, v14
	ds_write2_b64 v10, v[8:9], v[6:7] offset0:192 offset1:224
.LBB28_28:
	s_or_b64 exec, exec, s[4:5]
	s_waitcnt lgkmcnt(0)
	s_barrier
	s_and_saveexec_b64 s[4:5], s[2:3]
	s_cbranch_execz .LBB28_30
; %bb.29:
	ds_read_b64 v[6:7], v14 offset:11776
	s_waitcnt lgkmcnt(0)
	ds_write_b64 v1, v[6:7] offset:6136
.LBB28_30:
	s_or_b64 exec, exec, s[4:5]
	s_waitcnt lgkmcnt(0)
	s_barrier
	s_and_saveexec_b64 s[4:5], s[2:3]
	s_cbranch_execz .LBB28_36
; %bb.31:
	v_lshlrev_b32_e32 v1, 2, v0
	v_cmp_ne_u32_e32 vcc, 0, v0
	v_lshlrev_b32_e32 v1, 3, v1
                                        ; implicit-def: $vgpr6_vgpr7
	s_and_saveexec_b64 s[2:3], vcc
	s_xor_b64 s[2:3], exec, s[2:3]
	s_cbranch_execz .LBB28_33
; %bb.32:
	ds_read_b64 v[6:7], v1 offset:8
	ds_read_b64 v[8:9], v1 offset:8200
	;; [unrolled: 1-line block ×3, first 2 shown]
	s_waitcnt lgkmcnt(0)
	v_fma_f64 v[6:7], -v[6:7], v[10:11], v[8:9]
.LBB28_33:
	s_andn2_saveexec_b64 s[2:3], s[2:3]
	s_cbranch_execz .LBB28_35
; %bb.34:
	ds_read_b64 v[6:7], v1 offset:8200
.LBB28_35:
	s_or_b64 exec, exec, s[2:3]
	v_add_u32_e32 v8, 8, v1
	ds_read_b64 v[12:13], v1 offset:6168
	ds_read2st64_b64 v[8:11], v8 offset0:4 offset1:8
	s_waitcnt lgkmcnt(0)
	v_fma_f64 v[6:7], -v[10:11], v[12:13], v[6:7]
	v_div_scale_f64 v[10:11], s[2:3], v[8:9], v[8:9], v[6:7]
	v_rcp_f64_e32 v[12:13], v[10:11]
	v_div_scale_f64 v[16:17], vcc, v[6:7], v[8:9], v[6:7]
	v_fma_f64 v[18:19], -v[10:11], v[12:13], 1.0
	v_fmac_f64_e32 v[12:13], v[12:13], v[18:19]
	v_fma_f64 v[18:19], -v[10:11], v[12:13], 1.0
	v_fmac_f64_e32 v[12:13], v[12:13], v[18:19]
	v_mul_f64 v[18:19], v[16:17], v[12:13]
	v_fma_f64 v[10:11], -v[10:11], v[18:19], v[16:17]
	v_div_fmas_f64 v[10:11], v[10:11], v[12:13], v[18:19]
	v_div_fixup_f64 v[6:7], v[10:11], v[8:9], v[6:7]
	ds_write_b64 v1, v[6:7] offset:6152
.LBB28_36:
	s_or_b64 exec, exec, s[4:5]
	s_waitcnt lgkmcnt(0)
	s_barrier
	s_and_saveexec_b64 s[2:3], s[0:1]
	s_cbranch_execz .LBB28_42
; %bb.37:
	v_lshlrev_b32_e32 v1, 1, v0
	v_cmp_ne_u32_e32 vcc, 0, v0
	v_lshlrev_b32_e32 v6, 3, v1
                                        ; implicit-def: $vgpr0_vgpr1
	s_and_saveexec_b64 s[0:1], vcc
	s_xor_b64 s[0:1], exec, s[0:1]
	s_cbranch_execz .LBB28_39
; %bb.38:
	ds_read_b64 v[0:1], v6
	ds_read_b64 v[8:9], v6 offset:8192
	ds_read_b64 v[10:11], v6 offset:6136
	s_waitcnt lgkmcnt(0)
	v_fma_f64 v[0:1], -v[0:1], v[10:11], v[8:9]
.LBB28_39:
	s_andn2_saveexec_b64 s[0:1], s[0:1]
	s_cbranch_execz .LBB28_41
; %bb.40:
	ds_read_b64 v[0:1], v6 offset:8192
.LBB28_41:
	s_or_b64 exec, exec, s[0:1]
	ds_read2st64_b64 v[8:11], v6 offset0:4 offset1:8
	ds_read_b64 v[12:13], v6 offset:6152
	s_waitcnt lgkmcnt(0)
	v_fma_f64 v[0:1], -v[10:11], v[12:13], v[0:1]
	v_div_scale_f64 v[10:11], s[0:1], v[8:9], v[8:9], v[0:1]
	v_rcp_f64_e32 v[12:13], v[10:11]
	v_div_scale_f64 v[16:17], vcc, v[0:1], v[8:9], v[0:1]
	v_fma_f64 v[18:19], -v[10:11], v[12:13], 1.0
	v_fmac_f64_e32 v[12:13], v[12:13], v[18:19]
	v_fma_f64 v[18:19], -v[10:11], v[12:13], 1.0
	v_fmac_f64_e32 v[12:13], v[12:13], v[18:19]
	v_mul_f64 v[18:19], v[16:17], v[12:13]
	v_fma_f64 v[10:11], -v[10:11], v[18:19], v[16:17]
	v_div_fmas_f64 v[10:11], v[10:11], v[12:13], v[18:19]
	v_div_fixup_f64 v[0:1], v[10:11], v[8:9], v[0:1]
	ds_write_b64 v6, v[0:1] offset:6144
.LBB28_42:
	s_or_b64 exec, exec, s[2:3]
	s_waitcnt lgkmcnt(0)
	s_barrier
	ds_read2st64_b64 v[6:9], v14 offset0:12 offset1:14
	s_waitcnt lgkmcnt(0)
	global_store_dwordx2 v[2:3], v[6:7], off
	global_store_dwordx2 v[4:5], v[8:9], off
	s_endpgm
	.section	.rodata,"a",@progbits
	.p2align	6, 0x0
	.amdhsa_kernel _ZN9rocsparseL51gtsv_nopivot_strided_batch_crpcr_pow2_shared_kernelILj128ELj64EdEEviiiPKT1_S3_S3_PS1_
		.amdhsa_group_segment_fixed_size 12800
		.amdhsa_private_segment_fixed_size 0
		.amdhsa_kernarg_size 48
		.amdhsa_user_sgpr_count 6
		.amdhsa_user_sgpr_private_segment_buffer 1
		.amdhsa_user_sgpr_dispatch_ptr 0
		.amdhsa_user_sgpr_queue_ptr 0
		.amdhsa_user_sgpr_kernarg_segment_ptr 1
		.amdhsa_user_sgpr_dispatch_id 0
		.amdhsa_user_sgpr_flat_scratch_init 0
		.amdhsa_user_sgpr_kernarg_preload_length 0
		.amdhsa_user_sgpr_kernarg_preload_offset 0
		.amdhsa_user_sgpr_private_segment_size 0
		.amdhsa_uses_dynamic_stack 0
		.amdhsa_system_sgpr_private_segment_wavefront_offset 0
		.amdhsa_system_sgpr_workgroup_id_x 1
		.amdhsa_system_sgpr_workgroup_id_y 0
		.amdhsa_system_sgpr_workgroup_id_z 0
		.amdhsa_system_sgpr_workgroup_info 0
		.amdhsa_system_vgpr_workitem_id 0
		.amdhsa_next_free_vgpr 40
		.amdhsa_next_free_sgpr 16
		.amdhsa_accum_offset 40
		.amdhsa_reserve_vcc 1
		.amdhsa_reserve_flat_scratch 0
		.amdhsa_float_round_mode_32 0
		.amdhsa_float_round_mode_16_64 0
		.amdhsa_float_denorm_mode_32 3
		.amdhsa_float_denorm_mode_16_64 3
		.amdhsa_dx10_clamp 1
		.amdhsa_ieee_mode 1
		.amdhsa_fp16_overflow 0
		.amdhsa_tg_split 0
		.amdhsa_exception_fp_ieee_invalid_op 0
		.amdhsa_exception_fp_denorm_src 0
		.amdhsa_exception_fp_ieee_div_zero 0
		.amdhsa_exception_fp_ieee_overflow 0
		.amdhsa_exception_fp_ieee_underflow 0
		.amdhsa_exception_fp_ieee_inexact 0
		.amdhsa_exception_int_div_zero 0
	.end_amdhsa_kernel
	.section	.text._ZN9rocsparseL51gtsv_nopivot_strided_batch_crpcr_pow2_shared_kernelILj128ELj64EdEEviiiPKT1_S3_S3_PS1_,"axG",@progbits,_ZN9rocsparseL51gtsv_nopivot_strided_batch_crpcr_pow2_shared_kernelILj128ELj64EdEEviiiPKT1_S3_S3_PS1_,comdat
.Lfunc_end28:
	.size	_ZN9rocsparseL51gtsv_nopivot_strided_batch_crpcr_pow2_shared_kernelILj128ELj64EdEEviiiPKT1_S3_S3_PS1_, .Lfunc_end28-_ZN9rocsparseL51gtsv_nopivot_strided_batch_crpcr_pow2_shared_kernelILj128ELj64EdEEviiiPKT1_S3_S3_PS1_
                                        ; -- End function
	.section	.AMDGPU.csdata,"",@progbits
; Kernel info:
; codeLenInByte = 3748
; NumSgprs: 20
; NumVgprs: 40
; NumAgprs: 0
; TotalNumVgprs: 40
; ScratchSize: 0
; MemoryBound: 0
; FloatMode: 240
; IeeeMode: 1
; LDSByteSize: 12800 bytes/workgroup (compile time only)
; SGPRBlocks: 2
; VGPRBlocks: 4
; NumSGPRsForWavesPerEU: 20
; NumVGPRsForWavesPerEU: 40
; AccumOffset: 40
; Occupancy: 3
; WaveLimiterHint : 0
; COMPUTE_PGM_RSRC2:SCRATCH_EN: 0
; COMPUTE_PGM_RSRC2:USER_SGPR: 6
; COMPUTE_PGM_RSRC2:TRAP_HANDLER: 0
; COMPUTE_PGM_RSRC2:TGID_X_EN: 1
; COMPUTE_PGM_RSRC2:TGID_Y_EN: 0
; COMPUTE_PGM_RSRC2:TGID_Z_EN: 0
; COMPUTE_PGM_RSRC2:TIDIG_COMP_CNT: 0
; COMPUTE_PGM_RSRC3_GFX90A:ACCUM_OFFSET: 9
; COMPUTE_PGM_RSRC3_GFX90A:TG_SPLIT: 0
	.section	.text._ZN9rocsparseL51gtsv_nopivot_strided_batch_crpcr_pow2_shared_kernelILj256ELj64EdEEviiiPKT1_S3_S3_PS1_,"axG",@progbits,_ZN9rocsparseL51gtsv_nopivot_strided_batch_crpcr_pow2_shared_kernelILj256ELj64EdEEviiiPKT1_S3_S3_PS1_,comdat
	.globl	_ZN9rocsparseL51gtsv_nopivot_strided_batch_crpcr_pow2_shared_kernelILj256ELj64EdEEviiiPKT1_S3_S3_PS1_ ; -- Begin function _ZN9rocsparseL51gtsv_nopivot_strided_batch_crpcr_pow2_shared_kernelILj256ELj64EdEEviiiPKT1_S3_S3_PS1_
	.p2align	8
	.type	_ZN9rocsparseL51gtsv_nopivot_strided_batch_crpcr_pow2_shared_kernelILj256ELj64EdEEviiiPKT1_S3_S3_PS1_,@function
_ZN9rocsparseL51gtsv_nopivot_strided_batch_crpcr_pow2_shared_kernelILj256ELj64EdEEviiiPKT1_S3_S3_PS1_: ; @_ZN9rocsparseL51gtsv_nopivot_strided_batch_crpcr_pow2_shared_kernelILj256ELj64EdEEviiiPKT1_S3_S3_PS1_
; %bb.0:
	s_load_dword s0, s[4:5], 0x8
	s_load_dwordx8 s[8:15], s[4:5], 0x10
	v_lshlrev_b32_e32 v14, 3, v0
	v_add_u32_e32 v19, 1, v0
	s_waitcnt lgkmcnt(0)
	s_mul_i32 s6, s6, s0
	v_add_u32_e32 v2, s6, v0
	v_ashrrev_i32_e32 v3, 31, v2
	v_lshlrev_b64 v[4:5], 3, v[2:3]
	v_mov_b32_e32 v1, s9
	v_add_co_u32_e32 v6, vcc, s8, v4
	v_add_u32_e32 v2, 0x100, v2
	v_mov_b32_e32 v3, 0
	v_addc_co_u32_e32 v7, vcc, v1, v5, vcc
	v_lshlrev_b64 v[8:9], 3, v[2:3]
	v_add_co_u32_e32 v2, vcc, s8, v8
	v_addc_co_u32_e32 v3, vcc, v1, v9, vcc
	global_load_dwordx2 v[10:11], v[6:7], off
	global_load_dwordx2 v[12:13], v[2:3], off
	v_mov_b32_e32 v1, s11
	v_add_co_u32_e32 v2, vcc, s10, v4
	v_addc_co_u32_e32 v3, vcc, v1, v5, vcc
	v_add_co_u32_e32 v6, vcc, s10, v8
	v_addc_co_u32_e32 v7, vcc, v1, v9, vcc
	global_load_dwordx2 v[16:17], v[2:3], off
	global_load_dwordx2 v[20:21], v[6:7], off
	v_mov_b32_e32 v1, s13
	v_add_co_u32_e32 v2, vcc, s12, v4
	v_addc_co_u32_e32 v3, vcc, v1, v5, vcc
	;; [unrolled: 7-line block ×3, first 2 shown]
	v_add_co_u32_e32 v4, vcc, s14, v8
	v_addc_co_u32_e32 v5, vcc, v1, v9, vcc
	global_load_dwordx2 v[6:7], v[2:3], off
	global_load_dwordx2 v[8:9], v[4:5], off
	s_movk_i32 s0, 0x100
	v_cmp_gt_u32_e64 s[0:1], s0, v0
	s_waitcnt vmcnt(6)
	ds_write2st64_b64 v14, v[10:11], v[12:13] offset1:4
	s_waitcnt vmcnt(4)
	ds_write2st64_b64 v14, v[16:17], v[20:21] offset0:8 offset1:12
	s_waitcnt vmcnt(2)
	ds_write2st64_b64 v14, v[22:23], v[24:25] offset0:16 offset1:20
	;; [unrolled: 2-line block ×3, first 2 shown]
	s_waitcnt lgkmcnt(0)
	s_barrier
	s_and_saveexec_b64 s[2:3], s[0:1]
	s_cbranch_execz .LBB29_2
; %bb.1:
	v_lshlrev_b32_e32 v1, 4, v19
	v_add_u32_e32 v6, -16, v1
	ds_read_b128 v[6:9], v6
	ds_read_b128 v[10:13], v1 offset:4080
	ds_read_b128 v[20:23], v1 offset:8176
	;; [unrolled: 1-line block ×3, first 2 shown]
	v_lshlrev_b32_e32 v15, 1, v19
	v_min_u32_e32 v15, 0x1ff, v15
	s_waitcnt lgkmcnt(2)
	v_div_scale_f64 v[16:17], s[4:5], v[10:11], v[10:11], v[8:9]
	v_rcp_f64_e32 v[32:33], v[16:17]
	v_lshlrev_b32_e32 v15, 3, v15
	v_div_scale_f64 v[34:35], vcc, v[8:9], v[10:11], v[8:9]
	v_fma_f64 v[28:29], -v[16:17], v[32:33], 1.0
	v_fmac_f64_e32 v[32:33], v[32:33], v[28:29]
	v_fma_f64 v[28:29], -v[16:17], v[32:33], 1.0
	v_fmac_f64_e32 v[32:33], v[32:33], v[28:29]
	ds_read2st64_b64 v[28:31], v15 offset1:8
	v_mul_f64 v[36:37], v[34:35], v[32:33]
	v_fma_f64 v[16:17], -v[16:17], v[36:37], v[34:35]
	v_div_fmas_f64 v[16:17], v[16:17], v[32:33], v[36:37]
	v_div_fixup_f64 v[16:17], v[16:17], v[10:11], v[8:9]
	s_waitcnt lgkmcnt(0)
	v_div_scale_f64 v[34:35], s[4:5], v[30:31], v[30:31], v[22:23]
	v_rcp_f64_e32 v[38:39], v[34:35]
	v_fma_f64 v[12:13], -v[16:17], v[20:21], v[12:13]
	v_fma_f64 v[20:21], -v[16:17], v[24:25], v[26:27]
	v_add_u32_e32 v18, -8, v1
	v_fma_f64 v[8:9], -v[34:35], v[38:39], 1.0
	v_fmac_f64_e32 v[38:39], v[38:39], v[8:9]
	v_fma_f64 v[8:9], -v[34:35], v[38:39], 1.0
	v_fmac_f64_e32 v[38:39], v[38:39], v[8:9]
	v_div_scale_f64 v[8:9], vcc, v[22:23], v[30:31], v[22:23]
	v_mul_f64 v[10:11], v[8:9], v[38:39]
	v_fma_f64 v[8:9], -v[34:35], v[10:11], v[8:9]
	v_mul_f64 v[6:7], v[16:17], -v[6:7]
	s_nop 0
	v_div_fmas_f64 v[32:33], v[8:9], v[38:39], v[10:11]
	ds_read2st64_b64 v[8:11], v15 offset0:16 offset1:32
	v_div_fixup_f64 v[22:23], v[32:33], v[30:31], v[22:23]
	v_fma_f64 v[12:13], -v[22:23], v[28:29], v[12:13]
	ds_write_b64 v18, v[6:7]
	s_waitcnt lgkmcnt(1)
	v_fma_f64 v[10:11], -v[22:23], v[10:11], v[20:21]
	ds_write_b64 v1, v[10:11] offset:16376
	v_mul_f64 v[6:7], v[22:23], -v[8:9]
	v_add_u32_e32 v1, 0x1f8, v1
	ds_write2st64_b64 v1, v[12:13], v[6:7] offset0:7 offset1:15
.LBB29_2:
	s_or_b64 exec, exec, s[2:3]
	s_movk_i32 s2, 0x80
	v_cmp_gt_u32_e64 s[2:3], s2, v0
	s_waitcnt lgkmcnt(0)
	s_barrier
	s_and_saveexec_b64 s[4:5], s[2:3]
	s_cbranch_execz .LBB29_4
; %bb.3:
	v_lshlrev_b32_e32 v1, 5, v19
	v_add_u32_e32 v6, 0x800, v1
	v_add_u32_e32 v15, -8, v1
	ds_read2_b64 v[6:9], v6 offset0:253 offset1:255
	ds_read_b64 v[16:17], v15
	v_subrev_u32_e32 v10, 24, v1
	ds_read_b64 v[32:33], v10
	v_lshl_or_b32 v10, v19, 2, 1
	v_min_u32_e32 v18, 0x1ff, v10
	s_waitcnt lgkmcnt(1)
	v_div_scale_f64 v[24:25], s[6:7], v[6:7], v[6:7], v[16:17]
	v_rcp_f64_e32 v[26:27], v[24:25]
	v_lshlrev_b32_e32 v18, 3, v18
	ds_read2st64_b64 v[20:23], v18 offset1:8
	v_div_scale_f64 v[28:29], vcc, v[16:17], v[6:7], v[16:17]
	v_fma_f64 v[10:11], -v[24:25], v[26:27], 1.0
	v_fmac_f64_e32 v[26:27], v[26:27], v[10:11]
	v_fma_f64 v[10:11], -v[24:25], v[26:27], 1.0
	v_fmac_f64_e32 v[26:27], v[26:27], v[10:11]
	v_add_u32_e32 v10, 0x1800, v1
	ds_read2_b64 v[10:13], v10 offset0:253 offset1:255
	v_mul_f64 v[30:31], v[28:29], v[26:27]
	v_fma_f64 v[24:25], -v[24:25], v[30:31], v[28:29]
	v_div_fmas_f64 v[24:25], v[24:25], v[26:27], v[30:31]
	v_div_fixup_f64 v[6:7], v[24:25], v[6:7], v[16:17]
	s_waitcnt lgkmcnt(0)
	v_div_scale_f64 v[28:29], s[6:7], v[22:23], v[22:23], v[12:13]
	v_rcp_f64_e32 v[34:35], v[28:29]
	v_fma_f64 v[8:9], -v[6:7], v[10:11], v[8:9]
	v_fma_f64 v[16:17], -v[28:29], v[34:35], 1.0
	v_fmac_f64_e32 v[34:35], v[34:35], v[16:17]
	v_fma_f64 v[16:17], -v[28:29], v[34:35], 1.0
	v_fmac_f64_e32 v[34:35], v[34:35], v[16:17]
	v_div_scale_f64 v[16:17], vcc, v[12:13], v[22:23], v[12:13]
	v_mul_f64 v[24:25], v[16:17], v[34:35]
	v_fma_f64 v[16:17], -v[28:29], v[24:25], v[16:17]
	s_nop 1
	v_div_fmas_f64 v[16:17], v[16:17], v[34:35], v[24:25]
	v_add_u32_e32 v24, 0x3800, v1
	ds_read2_b64 v[24:27], v24 offset0:253 offset1:255
	ds_read2st64_b64 v[28:31], v18 offset0:16 offset1:32
	v_div_fixup_f64 v[12:13], v[16:17], v[22:23], v[12:13]
	v_fma_f64 v[8:9], -v[12:13], v[20:21], v[8:9]
	s_waitcnt lgkmcnt(1)
	v_fma_f64 v[10:11], -v[6:7], v[24:25], v[26:27]
	s_waitcnt lgkmcnt(0)
	v_fma_f64 v[10:11], -v[12:13], v[30:31], v[10:11]
	v_mul_f64 v[6:7], v[6:7], -v[32:33]
	ds_write_b64 v1, v[10:11] offset:16376
	ds_write_b64 v15, v[6:7]
	v_mul_f64 v[6:7], v[12:13], -v[28:29]
	v_add_u32_e32 v1, 0x1f8, v1
	ds_write2st64_b64 v1, v[8:9], v[6:7] offset0:7 offset1:15
.LBB29_4:
	s_or_b64 exec, exec, s[4:5]
	v_cmp_gt_u32_e64 s[4:5], 64, v0
	v_lshlrev_b32_e32 v1, 6, v19
	s_waitcnt lgkmcnt(0)
	s_barrier
	s_and_saveexec_b64 s[6:7], s[4:5]
	s_cbranch_execz .LBB29_6
; %bb.5:
	v_add_u32_e32 v6, 0x800, v1
	v_add_u32_e32 v15, -8, v1
	ds_read2_b64 v[6:9], v6 offset0:251 offset1:255
	ds_read_b64 v[16:17], v15
	v_subrev_u32_e32 v10, 40, v1
	ds_read_b64 v[32:33], v10
	v_lshl_or_b32 v10, v19, 3, 3
	v_min_u32_e32 v18, 0x1ff, v10
	s_waitcnt lgkmcnt(1)
	v_div_scale_f64 v[24:25], s[8:9], v[6:7], v[6:7], v[16:17]
	v_rcp_f64_e32 v[26:27], v[24:25]
	v_lshlrev_b32_e32 v18, 3, v18
	ds_read2st64_b64 v[20:23], v18 offset1:8
	v_div_scale_f64 v[28:29], vcc, v[16:17], v[6:7], v[16:17]
	v_fma_f64 v[10:11], -v[24:25], v[26:27], 1.0
	v_fmac_f64_e32 v[26:27], v[26:27], v[10:11]
	v_fma_f64 v[10:11], -v[24:25], v[26:27], 1.0
	v_fmac_f64_e32 v[26:27], v[26:27], v[10:11]
	v_add_u32_e32 v10, 0x1800, v1
	ds_read2_b64 v[10:13], v10 offset0:251 offset1:255
	v_mul_f64 v[30:31], v[28:29], v[26:27]
	v_fma_f64 v[24:25], -v[24:25], v[30:31], v[28:29]
	v_div_fmas_f64 v[24:25], v[24:25], v[26:27], v[30:31]
	v_div_fixup_f64 v[6:7], v[24:25], v[6:7], v[16:17]
	s_waitcnt lgkmcnt(0)
	v_div_scale_f64 v[28:29], s[8:9], v[22:23], v[22:23], v[12:13]
	v_rcp_f64_e32 v[34:35], v[28:29]
	v_fma_f64 v[8:9], -v[6:7], v[10:11], v[8:9]
	v_fma_f64 v[16:17], -v[28:29], v[34:35], 1.0
	v_fmac_f64_e32 v[34:35], v[34:35], v[16:17]
	v_fma_f64 v[16:17], -v[28:29], v[34:35], 1.0
	v_fmac_f64_e32 v[34:35], v[34:35], v[16:17]
	v_div_scale_f64 v[16:17], vcc, v[12:13], v[22:23], v[12:13]
	v_mul_f64 v[24:25], v[16:17], v[34:35]
	v_fma_f64 v[16:17], -v[28:29], v[24:25], v[16:17]
	s_nop 1
	v_div_fmas_f64 v[16:17], v[16:17], v[34:35], v[24:25]
	v_add_u32_e32 v24, 0x3800, v1
	ds_read2_b64 v[24:27], v24 offset0:251 offset1:255
	ds_read2st64_b64 v[28:31], v18 offset0:16 offset1:32
	v_div_fixup_f64 v[12:13], v[16:17], v[22:23], v[12:13]
	v_fma_f64 v[8:9], -v[12:13], v[20:21], v[8:9]
	s_waitcnt lgkmcnt(1)
	v_fma_f64 v[10:11], -v[6:7], v[24:25], v[26:27]
	s_waitcnt lgkmcnt(0)
	v_fma_f64 v[10:11], -v[12:13], v[30:31], v[10:11]
	v_mul_f64 v[6:7], v[6:7], -v[32:33]
	ds_write_b64 v1, v[10:11] offset:16376
	ds_write_b64 v15, v[6:7]
	v_mul_f64 v[6:7], v[12:13], -v[28:29]
	v_add_u32_e32 v10, 0x1f8, v1
	ds_write2st64_b64 v10, v[8:9], v[6:7] offset0:7 offset1:15
.LBB29_6:
	s_or_b64 exec, exec, s[6:7]
	s_waitcnt lgkmcnt(0)
	s_barrier
	s_and_saveexec_b64 s[6:7], s[4:5]
	s_cbranch_execz .LBB29_8
; %bb.7:
	v_add_u32_e32 v10, -8, v1
	v_add_u32_e32 v6, 0x1f8, v1
	ds_read2st64_b64 v[6:9], v6 offset0:7 offset1:15
	ds_read_b64 v[10:11], v10
	ds_read_b64 v[12:13], v1 offset:16376
	s_waitcnt lgkmcnt(1)
	ds_write2st64_b64 v14, v[10:11], v[6:7] offset0:40 offset1:41
	s_waitcnt lgkmcnt(1)
	ds_write2st64_b64 v14, v[8:9], v[12:13] offset0:42 offset1:44
.LBB29_8:
	s_or_b64 exec, exec, s[6:7]
	v_or_b32_e32 v16, 0x5000, v14
	v_add_u32_e32 v18, 0x5400, v14
	v_add_u32_e32 v17, 0x5200, v14
	v_or_b32_e32 v15, 0x5800, v14
	s_waitcnt lgkmcnt(0)
	s_barrier
	s_waitcnt lgkmcnt(0)
                                        ; implicit-def: $vgpr8_vgpr9
                                        ; implicit-def: $vgpr12_vgpr13
                                        ; implicit-def: $vgpr6_vgpr7
                                        ; implicit-def: $vgpr10_vgpr11
	s_and_saveexec_b64 s[6:7], s[4:5]
	s_cbranch_execz .LBB29_10
; %bb.9:
	v_max_u32_e32 v6, 1, v0
	v_lshlrev_b32_e32 v6, 3, v6
	v_add_u32_e32 v38, 0x1f8, v6
	ds_read2st64_b64 v[10:13], v38 offset0:39 offset1:40
	ds_read_b64 v[20:21], v16
	ds_read_b64 v[28:29], v18
	ds_read_b64 v[30:31], v17
	ds_read_b64 v[32:33], v15
	v_min_u32_e32 v6, 63, v19
	s_waitcnt lgkmcnt(3)
	v_div_scale_f64 v[22:23], s[8:9], v[12:13], v[12:13], v[20:21]
	v_rcp_f64_e32 v[24:25], v[22:23]
	v_lshlrev_b32_e32 v19, 3, v6
	v_div_scale_f64 v[26:27], vcc, v[20:21], v[12:13], v[20:21]
	v_fma_f64 v[6:7], -v[22:23], v[24:25], 1.0
	v_fmac_f64_e32 v[24:25], v[24:25], v[6:7]
	v_fma_f64 v[6:7], -v[22:23], v[24:25], 1.0
	v_fmac_f64_e32 v[24:25], v[24:25], v[6:7]
	ds_read2st64_b64 v[6:9], v19 offset0:40 offset1:41
	v_mul_f64 v[34:35], v[26:27], v[24:25]
	v_fma_f64 v[22:23], -v[22:23], v[34:35], v[26:27]
	v_div_fmas_f64 v[22:23], v[22:23], v[24:25], v[34:35]
	v_div_fixup_f64 v[12:13], v[22:23], v[12:13], v[20:21]
	s_waitcnt lgkmcnt(0)
	v_div_scale_f64 v[26:27], s[8:9], v[8:9], v[8:9], v[28:29]
	v_rcp_f64_e32 v[36:37], v[26:27]
	v_mul_f64 v[10:11], v[12:13], -v[10:11]
	v_fma_f64 v[20:21], -v[26:27], v[36:37], 1.0
	v_fmac_f64_e32 v[36:37], v[36:37], v[20:21]
	v_fma_f64 v[20:21], -v[26:27], v[36:37], 1.0
	v_fmac_f64_e32 v[36:37], v[36:37], v[20:21]
	v_div_scale_f64 v[20:21], vcc, v[28:29], v[8:9], v[28:29]
	v_mul_f64 v[24:25], v[20:21], v[36:37]
	v_fma_f64 v[26:27], -v[26:27], v[24:25], v[20:21]
	ds_read2st64_b64 v[20:23], v38 offset0:41 offset1:43
	s_nop 0
	v_div_fmas_f64 v[34:35], v[26:27], v[36:37], v[24:25]
	ds_read2st64_b64 v[24:27], v19 offset0:42 offset1:44
	v_div_fixup_f64 v[28:29], v[34:35], v[8:9], v[28:29]
	s_waitcnt lgkmcnt(1)
	v_fma_f64 v[8:9], -v[12:13], v[20:21], v[30:31]
	v_fma_f64 v[6:7], -v[28:29], v[6:7], v[8:9]
	;; [unrolled: 1-line block ×3, first 2 shown]
	s_waitcnt lgkmcnt(0)
	v_fma_f64 v[8:9], -v[28:29], v[26:27], v[8:9]
	v_mul_f64 v[12:13], v[28:29], -v[24:25]
.LBB29_10:
	s_or_b64 exec, exec, s[6:7]
	s_barrier
	s_and_saveexec_b64 s[6:7], s[4:5]
	s_cbranch_execz .LBB29_12
; %bb.11:
	ds_write_b64 v17, v[6:7]
	ds_write_b64 v15, v[8:9]
	ds_write_b64 v16, v[10:11]
	ds_write_b64 v18, v[12:13]
.LBB29_12:
	s_or_b64 exec, exec, s[6:7]
	s_waitcnt lgkmcnt(0)
	s_barrier
	s_and_saveexec_b64 s[6:7], s[4:5]
	s_cbranch_execz .LBB29_14
; %bb.13:
	v_max_u32_e32 v6, 2, v0
	v_lshlrev_b32_e32 v6, 3, v6
	v_add_u32_e32 v19, 0x1f0, v6
	ds_read2st64_b64 v[10:13], v19 offset0:39 offset1:40
	ds_read_b64 v[20:21], v16
	ds_read_b64 v[28:29], v18
	ds_read_b64 v[30:31], v17
	ds_read_b64 v[32:33], v15
	v_min_u32_e32 v6, 61, v0
	s_waitcnt lgkmcnt(3)
	v_div_scale_f64 v[22:23], s[8:9], v[12:13], v[12:13], v[20:21]
	v_rcp_f64_e32 v[24:25], v[22:23]
	v_lshlrev_b32_e32 v8, 3, v6
	v_add_u32_e32 v38, 16, v8
	v_div_scale_f64 v[26:27], vcc, v[20:21], v[12:13], v[20:21]
	v_fma_f64 v[6:7], -v[22:23], v[24:25], 1.0
	v_fmac_f64_e32 v[24:25], v[24:25], v[6:7]
	v_fma_f64 v[6:7], -v[22:23], v[24:25], 1.0
	v_fmac_f64_e32 v[24:25], v[24:25], v[6:7]
	ds_read2st64_b64 v[6:9], v38 offset0:40 offset1:41
	v_mul_f64 v[34:35], v[26:27], v[24:25]
	v_fma_f64 v[22:23], -v[22:23], v[34:35], v[26:27]
	v_div_fmas_f64 v[22:23], v[22:23], v[24:25], v[34:35]
	v_div_fixup_f64 v[12:13], v[22:23], v[12:13], v[20:21]
	s_waitcnt lgkmcnt(0)
	v_div_scale_f64 v[26:27], s[8:9], v[8:9], v[8:9], v[28:29]
	v_rcp_f64_e32 v[36:37], v[26:27]
	v_mul_f64 v[10:11], v[12:13], -v[10:11]
	v_fma_f64 v[20:21], -v[26:27], v[36:37], 1.0
	v_fmac_f64_e32 v[36:37], v[36:37], v[20:21]
	v_fma_f64 v[20:21], -v[26:27], v[36:37], 1.0
	v_fmac_f64_e32 v[36:37], v[36:37], v[20:21]
	v_div_scale_f64 v[20:21], vcc, v[28:29], v[8:9], v[28:29]
	v_mul_f64 v[24:25], v[20:21], v[36:37]
	v_fma_f64 v[26:27], -v[26:27], v[24:25], v[20:21]
	ds_read2st64_b64 v[20:23], v19 offset0:41 offset1:43
	s_nop 0
	v_div_fmas_f64 v[34:35], v[26:27], v[36:37], v[24:25]
	ds_read2st64_b64 v[24:27], v38 offset0:42 offset1:44
	v_div_fixup_f64 v[28:29], v[34:35], v[8:9], v[28:29]
	s_waitcnt lgkmcnt(1)
	v_fma_f64 v[8:9], -v[12:13], v[20:21], v[30:31]
	v_fma_f64 v[6:7], -v[28:29], v[6:7], v[8:9]
	v_fma_f64 v[8:9], -v[12:13], v[22:23], v[32:33]
	s_waitcnt lgkmcnt(0)
	v_fma_f64 v[8:9], -v[28:29], v[26:27], v[8:9]
	v_mul_f64 v[12:13], v[28:29], -v[24:25]
.LBB29_14:
	s_or_b64 exec, exec, s[6:7]
	s_barrier
	s_and_saveexec_b64 s[6:7], s[4:5]
	s_cbranch_execz .LBB29_16
; %bb.15:
	ds_write_b64 v17, v[6:7]
	ds_write_b64 v15, v[8:9]
	ds_write_b64 v16, v[10:11]
	ds_write_b64 v18, v[12:13]
.LBB29_16:
	s_or_b64 exec, exec, s[6:7]
	s_waitcnt lgkmcnt(0)
	s_barrier
	s_and_saveexec_b64 s[6:7], s[4:5]
	s_cbranch_execz .LBB29_18
; %bb.17:
	v_max_u32_e32 v6, 4, v0
	v_lshlrev_b32_e32 v6, 3, v6
	v_add_u32_e32 v19, 0x1e0, v6
	ds_read2st64_b64 v[10:13], v19 offset0:39 offset1:40
	ds_read_b64 v[20:21], v16
	ds_read_b64 v[28:29], v18
	ds_read_b64 v[30:31], v17
	ds_read_b64 v[32:33], v15
	v_min_u32_e32 v6, 59, v0
	s_waitcnt lgkmcnt(3)
	v_div_scale_f64 v[22:23], s[8:9], v[12:13], v[12:13], v[20:21]
	v_rcp_f64_e32 v[24:25], v[22:23]
	v_lshlrev_b32_e32 v8, 3, v6
	v_add_u32_e32 v38, 32, v8
	v_div_scale_f64 v[26:27], vcc, v[20:21], v[12:13], v[20:21]
	v_fma_f64 v[6:7], -v[22:23], v[24:25], 1.0
	v_fmac_f64_e32 v[24:25], v[24:25], v[6:7]
	v_fma_f64 v[6:7], -v[22:23], v[24:25], 1.0
	v_fmac_f64_e32 v[24:25], v[24:25], v[6:7]
	ds_read2st64_b64 v[6:9], v38 offset0:40 offset1:41
	v_mul_f64 v[34:35], v[26:27], v[24:25]
	v_fma_f64 v[22:23], -v[22:23], v[34:35], v[26:27]
	v_div_fmas_f64 v[22:23], v[22:23], v[24:25], v[34:35]
	v_div_fixup_f64 v[12:13], v[22:23], v[12:13], v[20:21]
	s_waitcnt lgkmcnt(0)
	v_div_scale_f64 v[26:27], s[8:9], v[8:9], v[8:9], v[28:29]
	v_rcp_f64_e32 v[36:37], v[26:27]
	v_mul_f64 v[10:11], v[12:13], -v[10:11]
	v_fma_f64 v[20:21], -v[26:27], v[36:37], 1.0
	v_fmac_f64_e32 v[36:37], v[36:37], v[20:21]
	v_fma_f64 v[20:21], -v[26:27], v[36:37], 1.0
	v_fmac_f64_e32 v[36:37], v[36:37], v[20:21]
	v_div_scale_f64 v[20:21], vcc, v[28:29], v[8:9], v[28:29]
	v_mul_f64 v[24:25], v[20:21], v[36:37]
	v_fma_f64 v[26:27], -v[26:27], v[24:25], v[20:21]
	ds_read2st64_b64 v[20:23], v19 offset0:41 offset1:43
	s_nop 0
	v_div_fmas_f64 v[34:35], v[26:27], v[36:37], v[24:25]
	ds_read2st64_b64 v[24:27], v38 offset0:42 offset1:44
	v_div_fixup_f64 v[28:29], v[34:35], v[8:9], v[28:29]
	s_waitcnt lgkmcnt(1)
	v_fma_f64 v[8:9], -v[12:13], v[20:21], v[30:31]
	v_fma_f64 v[6:7], -v[28:29], v[6:7], v[8:9]
	v_fma_f64 v[8:9], -v[12:13], v[22:23], v[32:33]
	s_waitcnt lgkmcnt(0)
	v_fma_f64 v[8:9], -v[28:29], v[26:27], v[8:9]
	v_mul_f64 v[12:13], v[28:29], -v[24:25]
.LBB29_18:
	;; [unrolled: 64-line block ×4, first 2 shown]
	s_or_b64 exec, exec, s[6:7]
	s_barrier
	s_and_saveexec_b64 s[6:7], s[4:5]
	s_cbranch_execz .LBB29_28
; %bb.27:
	ds_write_b64 v17, v[6:7]
	ds_write_b64 v15, v[8:9]
	;; [unrolled: 1-line block ×4, first 2 shown]
.LBB29_28:
	s_or_b64 exec, exec, s[6:7]
	v_cmp_gt_u32_e32 vcc, 32, v0
	s_waitcnt lgkmcnt(0)
	s_barrier
	s_and_saveexec_b64 s[6:7], vcc
	s_cbranch_execz .LBB29_30
; %bb.29:
	ds_read_b64 v[18:19], v18
	ds_read_b64 v[20:21], v16 offset:256
	ds_read2_b64 v[6:9], v17 offset1:32
	s_waitcnt lgkmcnt(1)
	v_mul_f64 v[10:11], v[18:19], v[20:21]
	s_waitcnt lgkmcnt(0)
	v_fma_f64 v[16:17], v[8:9], v[6:7], -v[10:11]
	v_div_scale_f64 v[22:23], s[8:9], v[16:17], v[16:17], 1.0
	v_rcp_f64_e32 v[24:25], v[22:23]
	ds_read2_b64 v[10:13], v15 offset1:32
	v_div_scale_f64 v[26:27], vcc, 1.0, v[16:17], 1.0
	v_fma_f64 v[28:29], -v[22:23], v[24:25], 1.0
	v_fmac_f64_e32 v[24:25], v[24:25], v[28:29]
	v_fma_f64 v[28:29], -v[22:23], v[24:25], 1.0
	v_fmac_f64_e32 v[24:25], v[24:25], v[28:29]
	v_mul_f64 v[28:29], v[26:27], v[24:25]
	v_fma_f64 v[22:23], -v[22:23], v[28:29], v[26:27]
	s_waitcnt lgkmcnt(0)
	v_mul_f64 v[18:19], v[18:19], v[12:13]
	v_div_fmas_f64 v[22:23], v[22:23], v[24:25], v[28:29]
	v_fma_f64 v[8:9], v[8:9], v[10:11], -v[18:19]
	v_mul_f64 v[10:11], v[20:21], v[10:11]
	v_div_fixup_f64 v[16:17], v[22:23], v[16:17], 1.0
	v_fma_f64 v[6:7], v[6:7], v[12:13], -v[10:11]
	v_mul_f64 v[8:9], v[16:17], v[8:9]
	v_mul_f64 v[6:7], v[16:17], v[6:7]
	v_add_u32_e32 v10, 0x5000, v14
	ds_write2_b64 v10, v[8:9], v[6:7] offset0:192 offset1:224
.LBB29_30:
	s_or_b64 exec, exec, s[6:7]
	s_waitcnt lgkmcnt(0)
	s_barrier
	s_and_saveexec_b64 s[6:7], s[4:5]
	s_cbranch_execz .LBB29_32
; %bb.31:
	ds_read_b64 v[6:7], v14 offset:22016
	s_waitcnt lgkmcnt(0)
	ds_write_b64 v1, v[6:7] offset:12280
.LBB29_32:
	s_or_b64 exec, exec, s[6:7]
	s_waitcnt lgkmcnt(0)
	s_barrier
	s_and_saveexec_b64 s[6:7], s[4:5]
	s_cbranch_execz .LBB29_38
; %bb.33:
	v_cmp_ne_u32_e32 vcc, 0, v0
	v_lshlrev_b32_e32 v1, 3, v14
                                        ; implicit-def: $vgpr6_vgpr7
	s_and_saveexec_b64 s[4:5], vcc
	s_xor_b64 s[4:5], exec, s[4:5]
	s_cbranch_execz .LBB29_35
; %bb.34:
	ds_read_b64 v[6:7], v1 offset:24
	ds_read_b64 v[8:9], v1 offset:16408
	;; [unrolled: 1-line block ×3, first 2 shown]
	s_waitcnt lgkmcnt(0)
	v_fma_f64 v[6:7], -v[6:7], v[10:11], v[8:9]
.LBB29_35:
	s_andn2_saveexec_b64 s[4:5], s[4:5]
	s_cbranch_execz .LBB29_37
; %bb.36:
	ds_read_b64 v[6:7], v1 offset:16408
.LBB29_37:
	s_or_b64 exec, exec, s[4:5]
	v_add_u32_e32 v8, 24, v1
	ds_read_b64 v[12:13], v1 offset:12344
	ds_read2st64_b64 v[8:11], v8 offset0:8 offset1:16
	s_waitcnt lgkmcnt(0)
	v_fma_f64 v[6:7], -v[10:11], v[12:13], v[6:7]
	v_div_scale_f64 v[10:11], s[4:5], v[8:9], v[8:9], v[6:7]
	v_rcp_f64_e32 v[12:13], v[10:11]
	v_div_scale_f64 v[16:17], vcc, v[6:7], v[8:9], v[6:7]
	v_fma_f64 v[18:19], -v[10:11], v[12:13], 1.0
	v_fmac_f64_e32 v[12:13], v[12:13], v[18:19]
	v_fma_f64 v[18:19], -v[10:11], v[12:13], 1.0
	v_fmac_f64_e32 v[12:13], v[12:13], v[18:19]
	v_mul_f64 v[18:19], v[16:17], v[12:13]
	v_fma_f64 v[10:11], -v[10:11], v[18:19], v[16:17]
	v_div_fmas_f64 v[10:11], v[10:11], v[12:13], v[18:19]
	v_div_fixup_f64 v[6:7], v[10:11], v[8:9], v[6:7]
	ds_write_b64 v1, v[6:7] offset:12312
.LBB29_38:
	s_or_b64 exec, exec, s[6:7]
	s_waitcnt lgkmcnt(0)
	s_barrier
	s_and_saveexec_b64 s[4:5], s[2:3]
	s_cbranch_execz .LBB29_44
; %bb.39:
	v_lshlrev_b32_e32 v1, 2, v0
	v_cmp_ne_u32_e32 vcc, 0, v0
	v_lshlrev_b32_e32 v1, 3, v1
                                        ; implicit-def: $vgpr6_vgpr7
	s_and_saveexec_b64 s[2:3], vcc
	s_xor_b64 s[2:3], exec, s[2:3]
	s_cbranch_execz .LBB29_41
; %bb.40:
	ds_read_b64 v[6:7], v1 offset:8
	ds_read_b64 v[8:9], v1 offset:16392
	;; [unrolled: 1-line block ×3, first 2 shown]
	s_waitcnt lgkmcnt(0)
	v_fma_f64 v[6:7], -v[6:7], v[10:11], v[8:9]
.LBB29_41:
	s_andn2_saveexec_b64 s[2:3], s[2:3]
	s_cbranch_execz .LBB29_43
; %bb.42:
	ds_read_b64 v[6:7], v1 offset:16392
.LBB29_43:
	s_or_b64 exec, exec, s[2:3]
	v_add_u32_e32 v8, 8, v1
	ds_read_b64 v[12:13], v1 offset:12312
	ds_read2st64_b64 v[8:11], v8 offset0:8 offset1:16
	s_waitcnt lgkmcnt(0)
	v_fma_f64 v[6:7], -v[10:11], v[12:13], v[6:7]
	v_div_scale_f64 v[10:11], s[2:3], v[8:9], v[8:9], v[6:7]
	v_rcp_f64_e32 v[12:13], v[10:11]
	v_div_scale_f64 v[16:17], vcc, v[6:7], v[8:9], v[6:7]
	v_fma_f64 v[18:19], -v[10:11], v[12:13], 1.0
	v_fmac_f64_e32 v[12:13], v[12:13], v[18:19]
	v_fma_f64 v[18:19], -v[10:11], v[12:13], 1.0
	v_fmac_f64_e32 v[12:13], v[12:13], v[18:19]
	v_mul_f64 v[18:19], v[16:17], v[12:13]
	v_fma_f64 v[10:11], -v[10:11], v[18:19], v[16:17]
	v_div_fmas_f64 v[10:11], v[10:11], v[12:13], v[18:19]
	v_div_fixup_f64 v[6:7], v[10:11], v[8:9], v[6:7]
	ds_write_b64 v1, v[6:7] offset:12296
.LBB29_44:
	s_or_b64 exec, exec, s[4:5]
	s_waitcnt lgkmcnt(0)
	s_barrier
	s_and_saveexec_b64 s[2:3], s[0:1]
	s_cbranch_execz .LBB29_50
; %bb.45:
	v_lshlrev_b32_e32 v1, 1, v0
	v_cmp_ne_u32_e32 vcc, 0, v0
	v_lshlrev_b32_e32 v6, 3, v1
                                        ; implicit-def: $vgpr0_vgpr1
	s_and_saveexec_b64 s[0:1], vcc
	s_xor_b64 s[0:1], exec, s[0:1]
	s_cbranch_execz .LBB29_47
; %bb.46:
	ds_read_b64 v[0:1], v6
	ds_read_b64 v[8:9], v6 offset:16384
	ds_read_b64 v[10:11], v6 offset:12280
	s_waitcnt lgkmcnt(0)
	v_fma_f64 v[0:1], -v[0:1], v[10:11], v[8:9]
.LBB29_47:
	s_andn2_saveexec_b64 s[0:1], s[0:1]
	s_cbranch_execz .LBB29_49
; %bb.48:
	ds_read_b64 v[0:1], v6 offset:16384
.LBB29_49:
	s_or_b64 exec, exec, s[0:1]
	ds_read2st64_b64 v[8:11], v6 offset0:8 offset1:16
	ds_read_b64 v[12:13], v6 offset:12296
	s_waitcnt lgkmcnt(0)
	v_fma_f64 v[0:1], -v[10:11], v[12:13], v[0:1]
	v_div_scale_f64 v[10:11], s[0:1], v[8:9], v[8:9], v[0:1]
	v_rcp_f64_e32 v[12:13], v[10:11]
	v_div_scale_f64 v[16:17], vcc, v[0:1], v[8:9], v[0:1]
	v_fma_f64 v[18:19], -v[10:11], v[12:13], 1.0
	v_fmac_f64_e32 v[12:13], v[12:13], v[18:19]
	v_fma_f64 v[18:19], -v[10:11], v[12:13], 1.0
	v_fmac_f64_e32 v[12:13], v[12:13], v[18:19]
	v_mul_f64 v[18:19], v[16:17], v[12:13]
	v_fma_f64 v[10:11], -v[10:11], v[18:19], v[16:17]
	v_div_fmas_f64 v[10:11], v[10:11], v[12:13], v[18:19]
	v_div_fixup_f64 v[0:1], v[10:11], v[8:9], v[0:1]
	ds_write_b64 v6, v[0:1] offset:12288
.LBB29_50:
	s_or_b64 exec, exec, s[2:3]
	s_waitcnt lgkmcnt(0)
	s_barrier
	ds_read2st64_b64 v[6:9], v14 offset0:24 offset1:28
	s_waitcnt lgkmcnt(0)
	global_store_dwordx2 v[2:3], v[6:7], off
	global_store_dwordx2 v[4:5], v[8:9], off
	s_endpgm
	.section	.rodata,"a",@progbits
	.p2align	6, 0x0
	.amdhsa_kernel _ZN9rocsparseL51gtsv_nopivot_strided_batch_crpcr_pow2_shared_kernelILj256ELj64EdEEviiiPKT1_S3_S3_PS1_
		.amdhsa_group_segment_fixed_size 23040
		.amdhsa_private_segment_fixed_size 0
		.amdhsa_kernarg_size 48
		.amdhsa_user_sgpr_count 6
		.amdhsa_user_sgpr_private_segment_buffer 1
		.amdhsa_user_sgpr_dispatch_ptr 0
		.amdhsa_user_sgpr_queue_ptr 0
		.amdhsa_user_sgpr_kernarg_segment_ptr 1
		.amdhsa_user_sgpr_dispatch_id 0
		.amdhsa_user_sgpr_flat_scratch_init 0
		.amdhsa_user_sgpr_kernarg_preload_length 0
		.amdhsa_user_sgpr_kernarg_preload_offset 0
		.amdhsa_user_sgpr_private_segment_size 0
		.amdhsa_uses_dynamic_stack 0
		.amdhsa_system_sgpr_private_segment_wavefront_offset 0
		.amdhsa_system_sgpr_workgroup_id_x 1
		.amdhsa_system_sgpr_workgroup_id_y 0
		.amdhsa_system_sgpr_workgroup_id_z 0
		.amdhsa_system_sgpr_workgroup_info 0
		.amdhsa_system_vgpr_workitem_id 0
		.amdhsa_next_free_vgpr 40
		.amdhsa_next_free_sgpr 16
		.amdhsa_accum_offset 40
		.amdhsa_reserve_vcc 1
		.amdhsa_reserve_flat_scratch 0
		.amdhsa_float_round_mode_32 0
		.amdhsa_float_round_mode_16_64 0
		.amdhsa_float_denorm_mode_32 3
		.amdhsa_float_denorm_mode_16_64 3
		.amdhsa_dx10_clamp 1
		.amdhsa_ieee_mode 1
		.amdhsa_fp16_overflow 0
		.amdhsa_tg_split 0
		.amdhsa_exception_fp_ieee_invalid_op 0
		.amdhsa_exception_fp_denorm_src 0
		.amdhsa_exception_fp_ieee_div_zero 0
		.amdhsa_exception_fp_ieee_overflow 0
		.amdhsa_exception_fp_ieee_underflow 0
		.amdhsa_exception_fp_ieee_inexact 0
		.amdhsa_exception_int_div_zero 0
	.end_amdhsa_kernel
	.section	.text._ZN9rocsparseL51gtsv_nopivot_strided_batch_crpcr_pow2_shared_kernelILj256ELj64EdEEviiiPKT1_S3_S3_PS1_,"axG",@progbits,_ZN9rocsparseL51gtsv_nopivot_strided_batch_crpcr_pow2_shared_kernelILj256ELj64EdEEviiiPKT1_S3_S3_PS1_,comdat
.Lfunc_end29:
	.size	_ZN9rocsparseL51gtsv_nopivot_strided_batch_crpcr_pow2_shared_kernelILj256ELj64EdEEviiiPKT1_S3_S3_PS1_, .Lfunc_end29-_ZN9rocsparseL51gtsv_nopivot_strided_batch_crpcr_pow2_shared_kernelILj256ELj64EdEEviiiPKT1_S3_S3_PS1_
                                        ; -- End function
	.section	.AMDGPU.csdata,"",@progbits
; Kernel info:
; codeLenInByte = 4364
; NumSgprs: 20
; NumVgprs: 40
; NumAgprs: 0
; TotalNumVgprs: 40
; ScratchSize: 0
; MemoryBound: 0
; FloatMode: 240
; IeeeMode: 1
; LDSByteSize: 23040 bytes/workgroup (compile time only)
; SGPRBlocks: 2
; VGPRBlocks: 4
; NumSGPRsForWavesPerEU: 20
; NumVGPRsForWavesPerEU: 40
; AccumOffset: 40
; Occupancy: 2
; WaveLimiterHint : 0
; COMPUTE_PGM_RSRC2:SCRATCH_EN: 0
; COMPUTE_PGM_RSRC2:USER_SGPR: 6
; COMPUTE_PGM_RSRC2:TRAP_HANDLER: 0
; COMPUTE_PGM_RSRC2:TGID_X_EN: 1
; COMPUTE_PGM_RSRC2:TGID_Y_EN: 0
; COMPUTE_PGM_RSRC2:TGID_Z_EN: 0
; COMPUTE_PGM_RSRC2:TIDIG_COMP_CNT: 0
; COMPUTE_PGM_RSRC3_GFX90A:ACCUM_OFFSET: 9
; COMPUTE_PGM_RSRC3_GFX90A:TG_SPLIT: 0
	.section	.text._ZN9rocsparseL44gtsv_nopivot_strided_batch_pcr_shared_kernelILj4EdEEviiiPKT0_S3_S3_PS1_,"axG",@progbits,_ZN9rocsparseL44gtsv_nopivot_strided_batch_pcr_shared_kernelILj4EdEEviiiPKT0_S3_S3_PS1_,comdat
	.globl	_ZN9rocsparseL44gtsv_nopivot_strided_batch_pcr_shared_kernelILj4EdEEviiiPKT0_S3_S3_PS1_ ; -- Begin function _ZN9rocsparseL44gtsv_nopivot_strided_batch_pcr_shared_kernelILj4EdEEviiiPKT0_S3_S3_PS1_
	.p2align	8
	.type	_ZN9rocsparseL44gtsv_nopivot_strided_batch_pcr_shared_kernelILj4EdEEviiiPKT0_S3_S3_PS1_,@function
_ZN9rocsparseL44gtsv_nopivot_strided_batch_pcr_shared_kernelILj4EdEEviiiPKT0_S3_S3_PS1_: ; @_ZN9rocsparseL44gtsv_nopivot_strided_batch_pcr_shared_kernelILj4EdEEviiiPKT0_S3_S3_PS1_
; %bb.0:
	s_load_dword s0, s[4:5], 0x8
	s_load_dword s8, s[4:5], 0x0
	v_pk_mov_b32 v[4:5], 0, 0
	v_pk_mov_b32 v[6:7], v[4:5], v[4:5] op_sel:[0,1]
	s_waitcnt lgkmcnt(0)
	s_mul_i32 s6, s6, s0
	v_add_u32_e32 v2, s6, v0
	v_cmp_gt_i32_e64 s[0:1], s8, v0
	v_ashrrev_i32_e32 v3, 31, v2
	s_and_saveexec_b64 s[2:3], s[0:1]
	s_cbranch_execz .LBB30_2
; %bb.1:
	s_load_dwordx2 s[6:7], s[4:5], 0x10
	v_lshlrev_b64 v[6:7], 3, v[2:3]
	s_waitcnt lgkmcnt(0)
	v_mov_b32_e32 v1, s7
	v_add_co_u32_e32 v6, vcc, s6, v6
	v_addc_co_u32_e32 v7, vcc, v1, v7, vcc
	global_load_dwordx2 v[6:7], v[6:7], off
.LBB30_2:
	s_or_b64 exec, exec, s[2:3]
	v_lshlrev_b32_e32 v1, 3, v0
	s_waitcnt vmcnt(0)
	ds_write_b64 v1, v[6:7]
	s_and_saveexec_b64 s[2:3], s[0:1]
	s_cbranch_execz .LBB30_4
; %bb.3:
	s_load_dwordx2 s[6:7], s[4:5], 0x18
	v_lshlrev_b64 v[4:5], 3, v[2:3]
	s_waitcnt lgkmcnt(0)
	v_mov_b32_e32 v6, s7
	v_add_co_u32_e32 v4, vcc, s6, v4
	v_addc_co_u32_e32 v5, vcc, v6, v5, vcc
	global_load_dwordx2 v[4:5], v[4:5], off
.LBB30_4:
	s_or_b64 exec, exec, s[2:3]
	s_load_dwordx2 s[2:3], s[4:5], 0x28
	s_waitcnt vmcnt(0)
	ds_write_b64 v1, v[4:5] offset:32
	v_pk_mov_b32 v[4:5], 0, 0
	v_pk_mov_b32 v[6:7], v[4:5], v[4:5] op_sel:[0,1]
	s_and_saveexec_b64 s[6:7], s[0:1]
	s_cbranch_execz .LBB30_6
; %bb.5:
	s_load_dwordx2 s[4:5], s[4:5], 0x20
	v_lshlrev_b64 v[6:7], 3, v[2:3]
	s_waitcnt lgkmcnt(0)
	v_mov_b32_e32 v8, s5
	v_add_co_u32_e32 v6, vcc, s4, v6
	v_addc_co_u32_e32 v7, vcc, v8, v7, vcc
	global_load_dwordx2 v[6:7], v[6:7], off
.LBB30_6:
	s_or_b64 exec, exec, s[6:7]
	v_or_b32_e32 v8, 32, v1
	v_or_b32_e32 v9, 64, v1
	s_waitcnt vmcnt(0)
	ds_write_b64 v1, v[6:7] offset:64
	s_and_saveexec_b64 s[4:5], s[0:1]
	s_cbranch_execz .LBB30_8
; %bb.7:
	v_lshlrev_b64 v[4:5], 3, v[2:3]
	s_waitcnt lgkmcnt(0)
	v_mov_b32_e32 v6, s3
	v_add_co_u32_e32 v4, vcc, s2, v4
	v_addc_co_u32_e32 v5, vcc, v6, v5, vcc
	global_load_dwordx2 v[4:5], v[4:5], off
.LBB30_8:
	s_or_b64 exec, exec, s[4:5]
	s_waitcnt vmcnt(0)
	ds_write_b64 v1, v[4:5] offset:128
	v_max_u32_e32 v4, 1, v0
	v_lshlrev_b32_e32 v11, 3, v4
	s_waitcnt lgkmcnt(0)
	; wave barrier
	s_waitcnt lgkmcnt(0)
	v_add_u32_e32 v12, -8, v11
	ds_read2_b64 v[4:7], v11 offset0:3 offset1:7
	ds_read_b64 v[14:15], v1
	ds_read_b64 v[18:19], v1 offset:128
	ds_read_b64 v[20:21], v11 offset:120
	ds_read_b64 v[22:23], v12
	s_add_i32 s6, s8, -1
	s_waitcnt lgkmcnt(3)
	v_div_scale_f64 v[16:17], s[4:5], v[4:5], v[4:5], v[14:15]
	v_rcp_f64_e32 v[24:25], v[16:17]
	v_add_u32_e32 v10, 1, v0
	v_mov_b32_e32 v11, s6
	v_cmp_gt_i32_e32 vcc, s8, v10
	v_cndmask_b32_e32 v12, v11, v10, vcc
	v_fma_f64 v[10:11], -v[16:17], v[24:25], 1.0
	v_fmac_f64_e32 v[24:25], v[24:25], v[10:11]
	v_fma_f64 v[10:11], -v[16:17], v[24:25], 1.0
	v_lshlrev_b32_e32 v36, 3, v12
	v_fmac_f64_e32 v[24:25], v[24:25], v[10:11]
	ds_read2_b64 v[10:13], v36 offset1:4
	ds_read_b64 v[28:29], v9
	v_div_scale_f64 v[26:27], vcc, v[14:15], v[4:5], v[14:15]
	v_mul_f64 v[30:31], v[26:27], v[24:25]
	v_fma_f64 v[16:17], -v[16:17], v[30:31], v[26:27]
	s_waitcnt lgkmcnt(0)
	v_div_scale_f64 v[32:33], s[4:5], v[12:13], v[12:13], v[28:29]
	v_rcp_f64_e32 v[34:35], v[32:33]
	v_div_fmas_f64 v[16:17], v[16:17], v[24:25], v[30:31]
	v_div_fixup_f64 v[4:5], v[16:17], v[4:5], v[14:15]
	ds_read_b64 v[26:27], v8
	v_fma_f64 v[14:15], -v[32:33], v[34:35], 1.0
	v_fmac_f64_e32 v[34:35], v[34:35], v[14:15]
	v_fma_f64 v[14:15], -v[32:33], v[34:35], 1.0
	v_fmac_f64_e32 v[34:35], v[34:35], v[14:15]
	v_div_scale_f64 v[14:15], vcc, v[28:29], v[12:13], v[28:29]
	v_mul_f64 v[16:17], v[14:15], v[34:35]
	v_fma_f64 v[14:15], -v[32:33], v[16:17], v[14:15]
	s_waitcnt lgkmcnt(0)
	v_fma_f64 v[6:7], -v[4:5], v[6:7], v[26:27]
	v_div_fmas_f64 v[24:25], v[14:15], v[34:35], v[16:17]
	ds_read2_b64 v[14:17], v36 offset0:8 offset1:16
	v_div_fixup_f64 v[12:13], v[24:25], v[12:13], v[28:29]
	v_fma_f64 v[6:7], -v[12:13], v[10:11], v[6:7]
	v_fma_f64 v[10:11], -v[4:5], v[20:21], v[18:19]
	v_cmp_gt_u32_e32 vcc, 2, v0
	s_waitcnt lgkmcnt(0)
	v_fma_f64 v[10:11], -v[12:13], v[16:17], v[10:11]
	v_mul_f64 v[4:5], v[4:5], -v[22:23]
	v_mul_f64 v[12:13], v[12:13], -v[14:15]
	s_waitcnt lgkmcnt(0)
	; wave barrier
	ds_write_b64 v8, v[6:7]
	ds_write_b64 v1, v[10:11] offset:128
	ds_write_b64 v1, v[4:5]
	ds_write_b64 v9, v[12:13]
	s_waitcnt lgkmcnt(0)
	; wave barrier
	s_waitcnt lgkmcnt(0)
	s_and_saveexec_b64 s[4:5], vcc
	s_cbranch_execz .LBB30_14
; %bb.9:
	v_or_b32_e32 v6, 2, v0
	v_or_b32_e32 v7, 0x80, v1
	v_cmp_le_i32_e32 vcc, s8, v6
                                        ; implicit-def: $vgpr4_vgpr5
	s_and_saveexec_b64 s[6:7], vcc
	s_xor_b64 s[6:7], exec, s[6:7]
	s_cbranch_execz .LBB30_11
; %bb.10:
	ds_read_b64 v[4:5], v7
	ds_read_b64 v[6:7], v8
	s_waitcnt lgkmcnt(0)
	v_div_scale_f64 v[8:9], s[8:9], v[6:7], v[6:7], v[4:5]
	v_rcp_f64_e32 v[10:11], v[8:9]
	v_div_scale_f64 v[12:13], vcc, v[4:5], v[6:7], v[4:5]
	v_fma_f64 v[14:15], -v[8:9], v[10:11], 1.0
	v_fmac_f64_e32 v[10:11], v[10:11], v[14:15]
	v_fma_f64 v[14:15], -v[8:9], v[10:11], 1.0
	v_fmac_f64_e32 v[10:11], v[10:11], v[14:15]
	v_mul_f64 v[14:15], v[12:13], v[10:11]
	v_fma_f64 v[8:9], -v[8:9], v[14:15], v[12:13]
	v_div_fmas_f64 v[8:9], v[8:9], v[10:11], v[14:15]
	v_div_fixup_f64 v[4:5], v[8:9], v[6:7], v[4:5]
                                        ; implicit-def: $vgpr8
                                        ; implicit-def: $vgpr9
                                        ; implicit-def: $vgpr7
                                        ; implicit-def: $vgpr6
.LBB30_11:
	s_andn2_saveexec_b64 s[6:7], s[6:7]
	s_cbranch_execz .LBB30_13
; %bb.12:
	ds_read_b64 v[4:5], v9
	ds_read_b64 v[16:17], v1 offset:16
	ds_read2_b64 v[8:11], v8 offset1:2
	v_mov_b32_e32 v0, v6
	s_waitcnt lgkmcnt(1)
	v_mul_f64 v[12:13], v[4:5], v[16:17]
	s_waitcnt lgkmcnt(0)
	v_fma_f64 v[18:19], v[10:11], v[8:9], -v[12:13]
	v_div_scale_f64 v[20:21], s[8:9], v[18:19], v[18:19], 1.0
	v_rcp_f64_e32 v[22:23], v[20:21]
	ds_read2_b64 v[12:15], v7 offset1:2
	v_div_scale_f64 v[24:25], vcc, 1.0, v[18:19], 1.0
	v_fma_f64 v[26:27], -v[20:21], v[22:23], 1.0
	v_fmac_f64_e32 v[22:23], v[22:23], v[26:27]
	v_fma_f64 v[26:27], -v[20:21], v[22:23], 1.0
	v_fmac_f64_e32 v[22:23], v[22:23], v[26:27]
	v_mul_f64 v[26:27], v[24:25], v[22:23]
	v_fma_f64 v[20:21], -v[20:21], v[26:27], v[24:25]
	v_div_fmas_f64 v[20:21], v[20:21], v[22:23], v[26:27]
	s_waitcnt lgkmcnt(0)
	v_mul_f64 v[4:5], v[4:5], v[14:15]
	v_div_fixup_f64 v[18:19], v[20:21], v[18:19], 1.0
	v_fma_f64 v[4:5], v[10:11], v[12:13], -v[4:5]
	v_mul_f64 v[4:5], v[18:19], v[4:5]
	ds_write_b64 v1, v[4:5] offset:96
	v_mul_f64 v[4:5], v[16:17], v[12:13]
	v_fma_f64 v[4:5], v[8:9], v[14:15], -v[4:5]
	v_mul_f64 v[4:5], v[18:19], v[4:5]
.LBB30_13:
	s_or_b64 exec, exec, s[6:7]
	v_lshlrev_b32_e32 v0, 3, v0
	ds_write_b64 v0, v[4:5] offset:96
.LBB30_14:
	s_or_b64 exec, exec, s[4:5]
	s_waitcnt lgkmcnt(0)
	; wave barrier
	s_waitcnt lgkmcnt(0)
	s_and_saveexec_b64 s[4:5], s[0:1]
	s_cbranch_execz .LBB30_16
; %bb.15:
	ds_read_b64 v[0:1], v1 offset:96
	v_lshlrev_b64 v[2:3], 3, v[2:3]
	v_mov_b32_e32 v4, s3
	v_add_co_u32_e32 v2, vcc, s2, v2
	v_addc_co_u32_e32 v3, vcc, v4, v3, vcc
	s_waitcnt lgkmcnt(0)
	global_store_dwordx2 v[2:3], v[0:1], off
.LBB30_16:
	s_endpgm
	.section	.rodata,"a",@progbits
	.p2align	6, 0x0
	.amdhsa_kernel _ZN9rocsparseL44gtsv_nopivot_strided_batch_pcr_shared_kernelILj4EdEEviiiPKT0_S3_S3_PS1_
		.amdhsa_group_segment_fixed_size 160
		.amdhsa_private_segment_fixed_size 0
		.amdhsa_kernarg_size 48
		.amdhsa_user_sgpr_count 6
		.amdhsa_user_sgpr_private_segment_buffer 1
		.amdhsa_user_sgpr_dispatch_ptr 0
		.amdhsa_user_sgpr_queue_ptr 0
		.amdhsa_user_sgpr_kernarg_segment_ptr 1
		.amdhsa_user_sgpr_dispatch_id 0
		.amdhsa_user_sgpr_flat_scratch_init 0
		.amdhsa_user_sgpr_kernarg_preload_length 0
		.amdhsa_user_sgpr_kernarg_preload_offset 0
		.amdhsa_user_sgpr_private_segment_size 0
		.amdhsa_uses_dynamic_stack 0
		.amdhsa_system_sgpr_private_segment_wavefront_offset 0
		.amdhsa_system_sgpr_workgroup_id_x 1
		.amdhsa_system_sgpr_workgroup_id_y 0
		.amdhsa_system_sgpr_workgroup_id_z 0
		.amdhsa_system_sgpr_workgroup_info 0
		.amdhsa_system_vgpr_workitem_id 0
		.amdhsa_next_free_vgpr 37
		.amdhsa_next_free_sgpr 10
		.amdhsa_accum_offset 40
		.amdhsa_reserve_vcc 1
		.amdhsa_reserve_flat_scratch 0
		.amdhsa_float_round_mode_32 0
		.amdhsa_float_round_mode_16_64 0
		.amdhsa_float_denorm_mode_32 3
		.amdhsa_float_denorm_mode_16_64 3
		.amdhsa_dx10_clamp 1
		.amdhsa_ieee_mode 1
		.amdhsa_fp16_overflow 0
		.amdhsa_tg_split 0
		.amdhsa_exception_fp_ieee_invalid_op 0
		.amdhsa_exception_fp_denorm_src 0
		.amdhsa_exception_fp_ieee_div_zero 0
		.amdhsa_exception_fp_ieee_overflow 0
		.amdhsa_exception_fp_ieee_underflow 0
		.amdhsa_exception_fp_ieee_inexact 0
		.amdhsa_exception_int_div_zero 0
	.end_amdhsa_kernel
	.section	.text._ZN9rocsparseL44gtsv_nopivot_strided_batch_pcr_shared_kernelILj4EdEEviiiPKT0_S3_S3_PS1_,"axG",@progbits,_ZN9rocsparseL44gtsv_nopivot_strided_batch_pcr_shared_kernelILj4EdEEviiiPKT0_S3_S3_PS1_,comdat
.Lfunc_end30:
	.size	_ZN9rocsparseL44gtsv_nopivot_strided_batch_pcr_shared_kernelILj4EdEEviiiPKT0_S3_S3_PS1_, .Lfunc_end30-_ZN9rocsparseL44gtsv_nopivot_strided_batch_pcr_shared_kernelILj4EdEEviiiPKT0_S3_S3_PS1_
                                        ; -- End function
	.section	.AMDGPU.csdata,"",@progbits
; Kernel info:
; codeLenInByte = 1136
; NumSgprs: 14
; NumVgprs: 37
; NumAgprs: 0
; TotalNumVgprs: 37
; ScratchSize: 0
; MemoryBound: 0
; FloatMode: 240
; IeeeMode: 1
; LDSByteSize: 160 bytes/workgroup (compile time only)
; SGPRBlocks: 1
; VGPRBlocks: 4
; NumSGPRsForWavesPerEU: 14
; NumVGPRsForWavesPerEU: 37
; AccumOffset: 40
; Occupancy: 8
; WaveLimiterHint : 0
; COMPUTE_PGM_RSRC2:SCRATCH_EN: 0
; COMPUTE_PGM_RSRC2:USER_SGPR: 6
; COMPUTE_PGM_RSRC2:TRAP_HANDLER: 0
; COMPUTE_PGM_RSRC2:TGID_X_EN: 1
; COMPUTE_PGM_RSRC2:TGID_Y_EN: 0
; COMPUTE_PGM_RSRC2:TGID_Z_EN: 0
; COMPUTE_PGM_RSRC2:TIDIG_COMP_CNT: 0
; COMPUTE_PGM_RSRC3_GFX90A:ACCUM_OFFSET: 9
; COMPUTE_PGM_RSRC3_GFX90A:TG_SPLIT: 0
	.section	.text._ZN9rocsparseL44gtsv_nopivot_strided_batch_pcr_shared_kernelILj8EdEEviiiPKT0_S3_S3_PS1_,"axG",@progbits,_ZN9rocsparseL44gtsv_nopivot_strided_batch_pcr_shared_kernelILj8EdEEviiiPKT0_S3_S3_PS1_,comdat
	.globl	_ZN9rocsparseL44gtsv_nopivot_strided_batch_pcr_shared_kernelILj8EdEEviiiPKT0_S3_S3_PS1_ ; -- Begin function _ZN9rocsparseL44gtsv_nopivot_strided_batch_pcr_shared_kernelILj8EdEEviiiPKT0_S3_S3_PS1_
	.p2align	8
	.type	_ZN9rocsparseL44gtsv_nopivot_strided_batch_pcr_shared_kernelILj8EdEEviiiPKT0_S3_S3_PS1_,@function
_ZN9rocsparseL44gtsv_nopivot_strided_batch_pcr_shared_kernelILj8EdEEviiiPKT0_S3_S3_PS1_: ; @_ZN9rocsparseL44gtsv_nopivot_strided_batch_pcr_shared_kernelILj8EdEEviiiPKT0_S3_S3_PS1_
; %bb.0:
	s_load_dword s0, s[4:5], 0x8
	s_load_dword s8, s[4:5], 0x0
	v_pk_mov_b32 v[4:5], 0, 0
	v_pk_mov_b32 v[6:7], v[4:5], v[4:5] op_sel:[0,1]
	s_waitcnt lgkmcnt(0)
	s_mul_i32 s6, s6, s0
	v_add_u32_e32 v2, s6, v0
	v_cmp_gt_i32_e64 s[0:1], s8, v0
	v_ashrrev_i32_e32 v3, 31, v2
	s_and_saveexec_b64 s[2:3], s[0:1]
	s_cbranch_execz .LBB31_2
; %bb.1:
	s_load_dwordx2 s[6:7], s[4:5], 0x10
	v_lshlrev_b64 v[6:7], 3, v[2:3]
	s_waitcnt lgkmcnt(0)
	v_mov_b32_e32 v1, s7
	v_add_co_u32_e32 v6, vcc, s6, v6
	v_addc_co_u32_e32 v7, vcc, v1, v7, vcc
	global_load_dwordx2 v[6:7], v[6:7], off
.LBB31_2:
	s_or_b64 exec, exec, s[2:3]
	v_lshlrev_b32_e32 v1, 3, v0
	s_waitcnt vmcnt(0)
	ds_write_b64 v1, v[6:7]
	s_and_saveexec_b64 s[2:3], s[0:1]
	s_cbranch_execz .LBB31_4
; %bb.3:
	s_load_dwordx2 s[6:7], s[4:5], 0x18
	v_lshlrev_b64 v[4:5], 3, v[2:3]
	s_waitcnt lgkmcnt(0)
	v_mov_b32_e32 v6, s7
	v_add_co_u32_e32 v4, vcc, s6, v4
	v_addc_co_u32_e32 v5, vcc, v6, v5, vcc
	global_load_dwordx2 v[4:5], v[4:5], off
.LBB31_4:
	s_or_b64 exec, exec, s[2:3]
	s_load_dwordx2 s[2:3], s[4:5], 0x28
	s_waitcnt vmcnt(0)
	ds_write_b64 v1, v[4:5] offset:64
	v_pk_mov_b32 v[4:5], 0, 0
	v_pk_mov_b32 v[6:7], v[4:5], v[4:5] op_sel:[0,1]
	s_and_saveexec_b64 s[6:7], s[0:1]
	s_cbranch_execz .LBB31_6
; %bb.5:
	s_load_dwordx2 s[4:5], s[4:5], 0x20
	v_lshlrev_b64 v[6:7], 3, v[2:3]
	s_waitcnt lgkmcnt(0)
	v_mov_b32_e32 v8, s5
	v_add_co_u32_e32 v6, vcc, s4, v6
	v_addc_co_u32_e32 v7, vcc, v8, v7, vcc
	global_load_dwordx2 v[6:7], v[6:7], off
.LBB31_6:
	s_or_b64 exec, exec, s[6:7]
	v_or_b32_e32 v8, 64, v1
	v_or_b32_e32 v9, 0x80, v1
	s_waitcnt vmcnt(0)
	ds_write_b64 v1, v[6:7] offset:128
	s_and_saveexec_b64 s[4:5], s[0:1]
	s_cbranch_execz .LBB31_8
; %bb.7:
	v_lshlrev_b64 v[4:5], 3, v[2:3]
	s_waitcnt lgkmcnt(0)
	v_mov_b32_e32 v6, s3
	v_add_co_u32_e32 v4, vcc, s2, v4
	v_addc_co_u32_e32 v5, vcc, v6, v5, vcc
	global_load_dwordx2 v[4:5], v[4:5], off
.LBB31_8:
	s_or_b64 exec, exec, s[4:5]
	s_waitcnt vmcnt(0)
	ds_write_b64 v1, v[4:5] offset:256
	v_max_u32_e32 v4, 1, v0
	v_lshlrev_b32_e32 v11, 3, v4
	s_waitcnt lgkmcnt(0)
	; wave barrier
	s_waitcnt lgkmcnt(0)
	v_add_u32_e32 v12, -8, v11
	ds_read2_b64 v[4:7], v11 offset0:7 offset1:15
	ds_read_b64 v[14:15], v1
	ds_read_b64 v[18:19], v1 offset:256
	ds_read_b64 v[20:21], v11 offset:248
	ds_read_b64 v[22:23], v12
	s_add_i32 s6, s8, -1
	s_waitcnt lgkmcnt(3)
	v_div_scale_f64 v[16:17], s[4:5], v[4:5], v[4:5], v[14:15]
	v_rcp_f64_e32 v[24:25], v[16:17]
	v_add_u32_e32 v10, 1, v0
	v_mov_b32_e32 v36, s6
	v_cmp_gt_i32_e32 vcc, s8, v10
	v_cndmask_b32_e32 v12, v36, v10, vcc
	v_fma_f64 v[10:11], -v[16:17], v[24:25], 1.0
	v_fmac_f64_e32 v[24:25], v[24:25], v[10:11]
	v_fma_f64 v[10:11], -v[16:17], v[24:25], 1.0
	v_lshlrev_b32_e32 v37, 3, v12
	v_fmac_f64_e32 v[24:25], v[24:25], v[10:11]
	ds_read2_b64 v[10:13], v37 offset1:8
	ds_read_b64 v[28:29], v9
	v_div_scale_f64 v[26:27], vcc, v[14:15], v[4:5], v[14:15]
	v_mul_f64 v[30:31], v[26:27], v[24:25]
	v_fma_f64 v[16:17], -v[16:17], v[30:31], v[26:27]
	s_waitcnt lgkmcnt(0)
	v_div_scale_f64 v[32:33], s[4:5], v[12:13], v[12:13], v[28:29]
	v_rcp_f64_e32 v[34:35], v[32:33]
	v_div_fmas_f64 v[16:17], v[16:17], v[24:25], v[30:31]
	v_div_fixup_f64 v[4:5], v[16:17], v[4:5], v[14:15]
	ds_read_b64 v[26:27], v8
	v_fma_f64 v[14:15], -v[32:33], v[34:35], 1.0
	v_fmac_f64_e32 v[34:35], v[34:35], v[14:15]
	v_fma_f64 v[14:15], -v[32:33], v[34:35], 1.0
	v_fmac_f64_e32 v[34:35], v[34:35], v[14:15]
	v_div_scale_f64 v[14:15], vcc, v[28:29], v[12:13], v[28:29]
	v_mul_f64 v[16:17], v[14:15], v[34:35]
	v_fma_f64 v[14:15], -v[32:33], v[16:17], v[14:15]
	s_waitcnt lgkmcnt(0)
	v_fma_f64 v[6:7], -v[4:5], v[6:7], v[26:27]
	v_div_fmas_f64 v[24:25], v[14:15], v[34:35], v[16:17]
	ds_read2_b64 v[14:17], v37 offset0:16 offset1:32
	v_div_fixup_f64 v[12:13], v[24:25], v[12:13], v[28:29]
	v_fma_f64 v[6:7], -v[12:13], v[10:11], v[6:7]
	v_fma_f64 v[10:11], -v[4:5], v[20:21], v[18:19]
	v_mul_f64 v[4:5], v[4:5], -v[22:23]
	s_waitcnt lgkmcnt(0)
	v_fma_f64 v[10:11], -v[12:13], v[16:17], v[10:11]
	v_mul_f64 v[12:13], v[12:13], -v[14:15]
	s_waitcnt lgkmcnt(0)
	; wave barrier
	ds_write_b64 v8, v[6:7]
	ds_write_b64 v1, v[10:11] offset:256
	ds_write_b64 v1, v[4:5]
	ds_write_b64 v9, v[12:13]
	v_max_u32_e32 v4, 2, v0
	v_lshlrev_b32_e32 v10, 3, v4
	s_waitcnt lgkmcnt(0)
	; wave barrier
	s_waitcnt lgkmcnt(0)
	v_add_u32_e32 v11, -16, v10
	ds_read2_b64 v[4:7], v10 offset0:6 offset1:14
	ds_read_b64 v[14:15], v1
	ds_read_b64 v[18:19], v1 offset:256
	ds_read_b64 v[20:21], v10 offset:240
	ds_read_b64 v[22:23], v11
	v_add_u32_e32 v10, 2, v0
	s_waitcnt lgkmcnt(3)
	v_div_scale_f64 v[16:17], s[4:5], v[4:5], v[4:5], v[14:15]
	v_rcp_f64_e32 v[24:25], v[16:17]
	v_cmp_gt_i32_e32 vcc, s8, v10
	v_cndmask_b32_e32 v12, v36, v10, vcc
	v_lshlrev_b32_e32 v36, 3, v12
	v_fma_f64 v[10:11], -v[16:17], v[24:25], 1.0
	v_fmac_f64_e32 v[24:25], v[24:25], v[10:11]
	v_fma_f64 v[10:11], -v[16:17], v[24:25], 1.0
	v_fmac_f64_e32 v[24:25], v[24:25], v[10:11]
	ds_read2_b64 v[10:13], v36 offset1:8
	ds_read_b64 v[28:29], v9
	v_div_scale_f64 v[26:27], vcc, v[14:15], v[4:5], v[14:15]
	v_mul_f64 v[30:31], v[26:27], v[24:25]
	v_fma_f64 v[16:17], -v[16:17], v[30:31], v[26:27]
	s_waitcnt lgkmcnt(0)
	v_div_scale_f64 v[32:33], s[4:5], v[12:13], v[12:13], v[28:29]
	v_rcp_f64_e32 v[34:35], v[32:33]
	v_div_fmas_f64 v[16:17], v[16:17], v[24:25], v[30:31]
	v_div_fixup_f64 v[4:5], v[16:17], v[4:5], v[14:15]
	ds_read_b64 v[26:27], v8
	v_fma_f64 v[14:15], -v[32:33], v[34:35], 1.0
	v_fmac_f64_e32 v[34:35], v[34:35], v[14:15]
	v_fma_f64 v[14:15], -v[32:33], v[34:35], 1.0
	v_fmac_f64_e32 v[34:35], v[34:35], v[14:15]
	v_div_scale_f64 v[14:15], vcc, v[28:29], v[12:13], v[28:29]
	v_mul_f64 v[16:17], v[14:15], v[34:35]
	v_fma_f64 v[14:15], -v[32:33], v[16:17], v[14:15]
	s_waitcnt lgkmcnt(0)
	v_fma_f64 v[6:7], -v[4:5], v[6:7], v[26:27]
	v_div_fmas_f64 v[24:25], v[14:15], v[34:35], v[16:17]
	ds_read2_b64 v[14:17], v36 offset0:16 offset1:32
	v_div_fixup_f64 v[12:13], v[24:25], v[12:13], v[28:29]
	v_fma_f64 v[6:7], -v[12:13], v[10:11], v[6:7]
	v_fma_f64 v[10:11], -v[4:5], v[20:21], v[18:19]
	v_cmp_gt_u32_e32 vcc, 4, v0
	s_waitcnt lgkmcnt(0)
	v_fma_f64 v[10:11], -v[12:13], v[16:17], v[10:11]
	v_mul_f64 v[4:5], v[4:5], -v[22:23]
	v_mul_f64 v[12:13], v[12:13], -v[14:15]
	s_waitcnt lgkmcnt(0)
	; wave barrier
	ds_write_b64 v8, v[6:7]
	ds_write_b64 v1, v[10:11] offset:256
	ds_write_b64 v1, v[4:5]
	ds_write_b64 v9, v[12:13]
	s_waitcnt lgkmcnt(0)
	; wave barrier
	s_waitcnt lgkmcnt(0)
	s_and_saveexec_b64 s[4:5], vcc
	s_cbranch_execz .LBB31_14
; %bb.9:
	v_or_b32_e32 v6, 4, v0
	v_or_b32_e32 v7, 0x100, v1
	v_cmp_le_i32_e32 vcc, s8, v6
                                        ; implicit-def: $vgpr4_vgpr5
	s_and_saveexec_b64 s[6:7], vcc
	s_xor_b64 s[6:7], exec, s[6:7]
	s_cbranch_execz .LBB31_11
; %bb.10:
	ds_read_b64 v[4:5], v7
	ds_read_b64 v[6:7], v8
	s_waitcnt lgkmcnt(0)
	v_div_scale_f64 v[8:9], s[8:9], v[6:7], v[6:7], v[4:5]
	v_rcp_f64_e32 v[10:11], v[8:9]
	v_div_scale_f64 v[12:13], vcc, v[4:5], v[6:7], v[4:5]
	v_fma_f64 v[14:15], -v[8:9], v[10:11], 1.0
	v_fmac_f64_e32 v[10:11], v[10:11], v[14:15]
	v_fma_f64 v[14:15], -v[8:9], v[10:11], 1.0
	v_fmac_f64_e32 v[10:11], v[10:11], v[14:15]
	v_mul_f64 v[14:15], v[12:13], v[10:11]
	v_fma_f64 v[8:9], -v[8:9], v[14:15], v[12:13]
	v_div_fmas_f64 v[8:9], v[8:9], v[10:11], v[14:15]
	v_div_fixup_f64 v[4:5], v[8:9], v[6:7], v[4:5]
                                        ; implicit-def: $vgpr8
                                        ; implicit-def: $vgpr9
                                        ; implicit-def: $vgpr7
                                        ; implicit-def: $vgpr6
.LBB31_11:
	s_andn2_saveexec_b64 s[6:7], s[6:7]
	s_cbranch_execz .LBB31_13
; %bb.12:
	ds_read_b64 v[4:5], v9
	ds_read_b64 v[16:17], v1 offset:32
	ds_read2_b64 v[8:11], v8 offset1:4
	v_mov_b32_e32 v0, v6
	s_waitcnt lgkmcnt(1)
	v_mul_f64 v[12:13], v[4:5], v[16:17]
	s_waitcnt lgkmcnt(0)
	v_fma_f64 v[18:19], v[10:11], v[8:9], -v[12:13]
	v_div_scale_f64 v[20:21], s[8:9], v[18:19], v[18:19], 1.0
	v_rcp_f64_e32 v[22:23], v[20:21]
	ds_read2_b64 v[12:15], v7 offset1:4
	v_div_scale_f64 v[24:25], vcc, 1.0, v[18:19], 1.0
	v_fma_f64 v[26:27], -v[20:21], v[22:23], 1.0
	v_fmac_f64_e32 v[22:23], v[22:23], v[26:27]
	v_fma_f64 v[26:27], -v[20:21], v[22:23], 1.0
	v_fmac_f64_e32 v[22:23], v[22:23], v[26:27]
	v_mul_f64 v[26:27], v[24:25], v[22:23]
	v_fma_f64 v[20:21], -v[20:21], v[26:27], v[24:25]
	v_div_fmas_f64 v[20:21], v[20:21], v[22:23], v[26:27]
	s_waitcnt lgkmcnt(0)
	v_mul_f64 v[4:5], v[4:5], v[14:15]
	v_div_fixup_f64 v[18:19], v[20:21], v[18:19], 1.0
	v_fma_f64 v[4:5], v[10:11], v[12:13], -v[4:5]
	v_mul_f64 v[4:5], v[18:19], v[4:5]
	ds_write_b64 v1, v[4:5] offset:192
	v_mul_f64 v[4:5], v[16:17], v[12:13]
	v_fma_f64 v[4:5], v[8:9], v[14:15], -v[4:5]
	v_mul_f64 v[4:5], v[18:19], v[4:5]
.LBB31_13:
	s_or_b64 exec, exec, s[6:7]
	v_lshlrev_b32_e32 v0, 3, v0
	ds_write_b64 v0, v[4:5] offset:192
.LBB31_14:
	s_or_b64 exec, exec, s[4:5]
	s_waitcnt lgkmcnt(0)
	; wave barrier
	s_waitcnt lgkmcnt(0)
	s_and_saveexec_b64 s[4:5], s[0:1]
	s_cbranch_execz .LBB31_16
; %bb.15:
	ds_read_b64 v[0:1], v1 offset:192
	v_lshlrev_b64 v[2:3], 3, v[2:3]
	v_mov_b32_e32 v4, s3
	v_add_co_u32_e32 v2, vcc, s2, v2
	v_addc_co_u32_e32 v3, vcc, v4, v3, vcc
	s_waitcnt lgkmcnt(0)
	global_store_dwordx2 v[2:3], v[0:1], off
.LBB31_16:
	s_endpgm
	.section	.rodata,"a",@progbits
	.p2align	6, 0x0
	.amdhsa_kernel _ZN9rocsparseL44gtsv_nopivot_strided_batch_pcr_shared_kernelILj8EdEEviiiPKT0_S3_S3_PS1_
		.amdhsa_group_segment_fixed_size 320
		.amdhsa_private_segment_fixed_size 0
		.amdhsa_kernarg_size 48
		.amdhsa_user_sgpr_count 6
		.amdhsa_user_sgpr_private_segment_buffer 1
		.amdhsa_user_sgpr_dispatch_ptr 0
		.amdhsa_user_sgpr_queue_ptr 0
		.amdhsa_user_sgpr_kernarg_segment_ptr 1
		.amdhsa_user_sgpr_dispatch_id 0
		.amdhsa_user_sgpr_flat_scratch_init 0
		.amdhsa_user_sgpr_kernarg_preload_length 0
		.amdhsa_user_sgpr_kernarg_preload_offset 0
		.amdhsa_user_sgpr_private_segment_size 0
		.amdhsa_uses_dynamic_stack 0
		.amdhsa_system_sgpr_private_segment_wavefront_offset 0
		.amdhsa_system_sgpr_workgroup_id_x 1
		.amdhsa_system_sgpr_workgroup_id_y 0
		.amdhsa_system_sgpr_workgroup_id_z 0
		.amdhsa_system_sgpr_workgroup_info 0
		.amdhsa_system_vgpr_workitem_id 0
		.amdhsa_next_free_vgpr 38
		.amdhsa_next_free_sgpr 10
		.amdhsa_accum_offset 40
		.amdhsa_reserve_vcc 1
		.amdhsa_reserve_flat_scratch 0
		.amdhsa_float_round_mode_32 0
		.amdhsa_float_round_mode_16_64 0
		.amdhsa_float_denorm_mode_32 3
		.amdhsa_float_denorm_mode_16_64 3
		.amdhsa_dx10_clamp 1
		.amdhsa_ieee_mode 1
		.amdhsa_fp16_overflow 0
		.amdhsa_tg_split 0
		.amdhsa_exception_fp_ieee_invalid_op 0
		.amdhsa_exception_fp_denorm_src 0
		.amdhsa_exception_fp_ieee_div_zero 0
		.amdhsa_exception_fp_ieee_overflow 0
		.amdhsa_exception_fp_ieee_underflow 0
		.amdhsa_exception_fp_ieee_inexact 0
		.amdhsa_exception_int_div_zero 0
	.end_amdhsa_kernel
	.section	.text._ZN9rocsparseL44gtsv_nopivot_strided_batch_pcr_shared_kernelILj8EdEEviiiPKT0_S3_S3_PS1_,"axG",@progbits,_ZN9rocsparseL44gtsv_nopivot_strided_batch_pcr_shared_kernelILj8EdEEviiiPKT0_S3_S3_PS1_,comdat
.Lfunc_end31:
	.size	_ZN9rocsparseL44gtsv_nopivot_strided_batch_pcr_shared_kernelILj8EdEEviiiPKT0_S3_S3_PS1_, .Lfunc_end31-_ZN9rocsparseL44gtsv_nopivot_strided_batch_pcr_shared_kernelILj8EdEEviiiPKT0_S3_S3_PS1_
                                        ; -- End function
	.section	.AMDGPU.csdata,"",@progbits
; Kernel info:
; codeLenInByte = 1500
; NumSgprs: 14
; NumVgprs: 38
; NumAgprs: 0
; TotalNumVgprs: 38
; ScratchSize: 0
; MemoryBound: 0
; FloatMode: 240
; IeeeMode: 1
; LDSByteSize: 320 bytes/workgroup (compile time only)
; SGPRBlocks: 1
; VGPRBlocks: 4
; NumSGPRsForWavesPerEU: 14
; NumVGPRsForWavesPerEU: 38
; AccumOffset: 40
; Occupancy: 8
; WaveLimiterHint : 0
; COMPUTE_PGM_RSRC2:SCRATCH_EN: 0
; COMPUTE_PGM_RSRC2:USER_SGPR: 6
; COMPUTE_PGM_RSRC2:TRAP_HANDLER: 0
; COMPUTE_PGM_RSRC2:TGID_X_EN: 1
; COMPUTE_PGM_RSRC2:TGID_Y_EN: 0
; COMPUTE_PGM_RSRC2:TGID_Z_EN: 0
; COMPUTE_PGM_RSRC2:TIDIG_COMP_CNT: 0
; COMPUTE_PGM_RSRC3_GFX90A:ACCUM_OFFSET: 9
; COMPUTE_PGM_RSRC3_GFX90A:TG_SPLIT: 0
	.section	.text._ZN9rocsparseL44gtsv_nopivot_strided_batch_pcr_shared_kernelILj16EdEEviiiPKT0_S3_S3_PS1_,"axG",@progbits,_ZN9rocsparseL44gtsv_nopivot_strided_batch_pcr_shared_kernelILj16EdEEviiiPKT0_S3_S3_PS1_,comdat
	.globl	_ZN9rocsparseL44gtsv_nopivot_strided_batch_pcr_shared_kernelILj16EdEEviiiPKT0_S3_S3_PS1_ ; -- Begin function _ZN9rocsparseL44gtsv_nopivot_strided_batch_pcr_shared_kernelILj16EdEEviiiPKT0_S3_S3_PS1_
	.p2align	8
	.type	_ZN9rocsparseL44gtsv_nopivot_strided_batch_pcr_shared_kernelILj16EdEEviiiPKT0_S3_S3_PS1_,@function
_ZN9rocsparseL44gtsv_nopivot_strided_batch_pcr_shared_kernelILj16EdEEviiiPKT0_S3_S3_PS1_: ; @_ZN9rocsparseL44gtsv_nopivot_strided_batch_pcr_shared_kernelILj16EdEEviiiPKT0_S3_S3_PS1_
; %bb.0:
	s_load_dword s0, s[4:5], 0x8
	s_load_dword s8, s[4:5], 0x0
	v_pk_mov_b32 v[4:5], 0, 0
	v_pk_mov_b32 v[6:7], v[4:5], v[4:5] op_sel:[0,1]
	s_waitcnt lgkmcnt(0)
	s_mul_i32 s6, s6, s0
	v_add_u32_e32 v2, s6, v0
	v_cmp_gt_i32_e64 s[0:1], s8, v0
	v_ashrrev_i32_e32 v3, 31, v2
	s_and_saveexec_b64 s[2:3], s[0:1]
	s_cbranch_execz .LBB32_2
; %bb.1:
	s_load_dwordx2 s[6:7], s[4:5], 0x10
	v_lshlrev_b64 v[6:7], 3, v[2:3]
	s_waitcnt lgkmcnt(0)
	v_mov_b32_e32 v1, s7
	v_add_co_u32_e32 v6, vcc, s6, v6
	v_addc_co_u32_e32 v7, vcc, v1, v7, vcc
	global_load_dwordx2 v[6:7], v[6:7], off
.LBB32_2:
	s_or_b64 exec, exec, s[2:3]
	v_lshlrev_b32_e32 v1, 3, v0
	s_waitcnt vmcnt(0)
	ds_write_b64 v1, v[6:7]
	s_and_saveexec_b64 s[2:3], s[0:1]
	s_cbranch_execz .LBB32_4
; %bb.3:
	s_load_dwordx2 s[6:7], s[4:5], 0x18
	v_lshlrev_b64 v[4:5], 3, v[2:3]
	s_waitcnt lgkmcnt(0)
	v_mov_b32_e32 v6, s7
	v_add_co_u32_e32 v4, vcc, s6, v4
	v_addc_co_u32_e32 v5, vcc, v6, v5, vcc
	global_load_dwordx2 v[4:5], v[4:5], off
.LBB32_4:
	s_or_b64 exec, exec, s[2:3]
	s_load_dwordx2 s[2:3], s[4:5], 0x28
	s_waitcnt vmcnt(0)
	ds_write_b64 v1, v[4:5] offset:128
	v_pk_mov_b32 v[4:5], 0, 0
	v_pk_mov_b32 v[6:7], v[4:5], v[4:5] op_sel:[0,1]
	s_and_saveexec_b64 s[6:7], s[0:1]
	s_cbranch_execz .LBB32_6
; %bb.5:
	s_load_dwordx2 s[4:5], s[4:5], 0x20
	v_lshlrev_b64 v[6:7], 3, v[2:3]
	s_waitcnt lgkmcnt(0)
	v_mov_b32_e32 v8, s5
	v_add_co_u32_e32 v6, vcc, s4, v6
	v_addc_co_u32_e32 v7, vcc, v8, v7, vcc
	global_load_dwordx2 v[6:7], v[6:7], off
.LBB32_6:
	s_or_b64 exec, exec, s[6:7]
	v_or_b32_e32 v8, 0x80, v1
	v_or_b32_e32 v9, 0x100, v1
	s_waitcnt vmcnt(0)
	ds_write_b64 v1, v[6:7] offset:256
	s_and_saveexec_b64 s[4:5], s[0:1]
	s_cbranch_execz .LBB32_8
; %bb.7:
	v_lshlrev_b64 v[4:5], 3, v[2:3]
	s_waitcnt lgkmcnt(0)
	v_mov_b32_e32 v6, s3
	v_add_co_u32_e32 v4, vcc, s2, v4
	v_addc_co_u32_e32 v5, vcc, v6, v5, vcc
	global_load_dwordx2 v[4:5], v[4:5], off
.LBB32_8:
	s_or_b64 exec, exec, s[4:5]
	s_waitcnt vmcnt(0)
	ds_write_b64 v1, v[4:5] offset:512
	v_max_u32_e32 v4, 1, v0
	v_lshlrev_b32_e32 v11, 3, v4
	s_waitcnt lgkmcnt(0)
	; wave barrier
	s_waitcnt lgkmcnt(0)
	v_add_u32_e32 v12, -8, v11
	ds_read2_b64 v[4:7], v11 offset0:15 offset1:31
	ds_read_b64 v[14:15], v1
	ds_read_b64 v[18:19], v1 offset:512
	ds_read_b64 v[20:21], v11 offset:504
	ds_read_b64 v[22:23], v12
	s_add_i32 s6, s8, -1
	s_waitcnt lgkmcnt(3)
	v_div_scale_f64 v[16:17], s[4:5], v[4:5], v[4:5], v[14:15]
	v_rcp_f64_e32 v[24:25], v[16:17]
	v_add_u32_e32 v10, 1, v0
	v_mov_b32_e32 v36, s6
	v_cmp_gt_i32_e32 vcc, s8, v10
	v_cndmask_b32_e32 v12, v36, v10, vcc
	v_fma_f64 v[10:11], -v[16:17], v[24:25], 1.0
	v_fmac_f64_e32 v[24:25], v[24:25], v[10:11]
	v_fma_f64 v[10:11], -v[16:17], v[24:25], 1.0
	v_lshlrev_b32_e32 v37, 3, v12
	v_fmac_f64_e32 v[24:25], v[24:25], v[10:11]
	ds_read2_b64 v[10:13], v37 offset1:16
	ds_read_b64 v[28:29], v9
	v_div_scale_f64 v[26:27], vcc, v[14:15], v[4:5], v[14:15]
	v_mul_f64 v[30:31], v[26:27], v[24:25]
	v_fma_f64 v[16:17], -v[16:17], v[30:31], v[26:27]
	s_waitcnt lgkmcnt(0)
	v_div_scale_f64 v[32:33], s[4:5], v[12:13], v[12:13], v[28:29]
	v_rcp_f64_e32 v[34:35], v[32:33]
	v_div_fmas_f64 v[16:17], v[16:17], v[24:25], v[30:31]
	v_div_fixup_f64 v[4:5], v[16:17], v[4:5], v[14:15]
	ds_read_b64 v[26:27], v8
	v_fma_f64 v[14:15], -v[32:33], v[34:35], 1.0
	v_fmac_f64_e32 v[34:35], v[34:35], v[14:15]
	v_fma_f64 v[14:15], -v[32:33], v[34:35], 1.0
	v_fmac_f64_e32 v[34:35], v[34:35], v[14:15]
	v_div_scale_f64 v[14:15], vcc, v[28:29], v[12:13], v[28:29]
	v_mul_f64 v[16:17], v[14:15], v[34:35]
	v_fma_f64 v[14:15], -v[32:33], v[16:17], v[14:15]
	s_waitcnt lgkmcnt(0)
	v_fma_f64 v[6:7], -v[4:5], v[6:7], v[26:27]
	v_div_fmas_f64 v[24:25], v[14:15], v[34:35], v[16:17]
	ds_read2_b64 v[14:17], v37 offset0:32 offset1:64
	v_div_fixup_f64 v[12:13], v[24:25], v[12:13], v[28:29]
	v_fma_f64 v[6:7], -v[12:13], v[10:11], v[6:7]
	v_fma_f64 v[10:11], -v[4:5], v[20:21], v[18:19]
	v_mul_f64 v[4:5], v[4:5], -v[22:23]
	s_waitcnt lgkmcnt(0)
	v_fma_f64 v[10:11], -v[12:13], v[16:17], v[10:11]
	v_mul_f64 v[12:13], v[12:13], -v[14:15]
	s_waitcnt lgkmcnt(0)
	; wave barrier
	ds_write_b64 v8, v[6:7]
	ds_write_b64 v1, v[10:11] offset:512
	ds_write_b64 v1, v[4:5]
	ds_write_b64 v9, v[12:13]
	v_max_u32_e32 v4, 2, v0
	v_lshlrev_b32_e32 v10, 3, v4
	s_waitcnt lgkmcnt(0)
	; wave barrier
	s_waitcnt lgkmcnt(0)
	v_add_u32_e32 v11, -16, v10
	ds_read2_b64 v[4:7], v10 offset0:14 offset1:30
	ds_read_b64 v[14:15], v1
	ds_read_b64 v[18:19], v1 offset:512
	ds_read_b64 v[20:21], v10 offset:496
	ds_read_b64 v[22:23], v11
	v_add_u32_e32 v10, 2, v0
	s_waitcnt lgkmcnt(3)
	v_div_scale_f64 v[16:17], s[4:5], v[4:5], v[4:5], v[14:15]
	v_rcp_f64_e32 v[24:25], v[16:17]
	v_cmp_gt_i32_e32 vcc, s8, v10
	v_cndmask_b32_e32 v12, v36, v10, vcc
	v_lshlrev_b32_e32 v37, 3, v12
	v_fma_f64 v[10:11], -v[16:17], v[24:25], 1.0
	v_fmac_f64_e32 v[24:25], v[24:25], v[10:11]
	v_fma_f64 v[10:11], -v[16:17], v[24:25], 1.0
	v_fmac_f64_e32 v[24:25], v[24:25], v[10:11]
	ds_read2_b64 v[10:13], v37 offset1:16
	ds_read_b64 v[28:29], v9
	v_div_scale_f64 v[26:27], vcc, v[14:15], v[4:5], v[14:15]
	v_mul_f64 v[30:31], v[26:27], v[24:25]
	v_fma_f64 v[16:17], -v[16:17], v[30:31], v[26:27]
	s_waitcnt lgkmcnt(0)
	v_div_scale_f64 v[32:33], s[4:5], v[12:13], v[12:13], v[28:29]
	v_rcp_f64_e32 v[34:35], v[32:33]
	v_div_fmas_f64 v[16:17], v[16:17], v[24:25], v[30:31]
	v_div_fixup_f64 v[4:5], v[16:17], v[4:5], v[14:15]
	ds_read_b64 v[26:27], v8
	v_fma_f64 v[14:15], -v[32:33], v[34:35], 1.0
	v_fmac_f64_e32 v[34:35], v[34:35], v[14:15]
	v_fma_f64 v[14:15], -v[32:33], v[34:35], 1.0
	v_fmac_f64_e32 v[34:35], v[34:35], v[14:15]
	v_div_scale_f64 v[14:15], vcc, v[28:29], v[12:13], v[28:29]
	v_mul_f64 v[16:17], v[14:15], v[34:35]
	v_fma_f64 v[14:15], -v[32:33], v[16:17], v[14:15]
	s_waitcnt lgkmcnt(0)
	v_fma_f64 v[6:7], -v[4:5], v[6:7], v[26:27]
	v_div_fmas_f64 v[24:25], v[14:15], v[34:35], v[16:17]
	ds_read2_b64 v[14:17], v37 offset0:32 offset1:64
	v_div_fixup_f64 v[12:13], v[24:25], v[12:13], v[28:29]
	v_fma_f64 v[6:7], -v[12:13], v[10:11], v[6:7]
	v_fma_f64 v[10:11], -v[4:5], v[20:21], v[18:19]
	v_mul_f64 v[4:5], v[4:5], -v[22:23]
	s_waitcnt lgkmcnt(0)
	v_fma_f64 v[10:11], -v[12:13], v[16:17], v[10:11]
	v_mul_f64 v[12:13], v[12:13], -v[14:15]
	s_waitcnt lgkmcnt(0)
	; wave barrier
	ds_write_b64 v8, v[6:7]
	ds_write_b64 v1, v[10:11] offset:512
	ds_write_b64 v1, v[4:5]
	ds_write_b64 v9, v[12:13]
	v_max_u32_e32 v4, 4, v0
	v_lshlrev_b32_e32 v10, 3, v4
	s_waitcnt lgkmcnt(0)
	; wave barrier
	s_waitcnt lgkmcnt(0)
	v_subrev_u32_e32 v11, 32, v10
	ds_read2_b64 v[4:7], v10 offset0:12 offset1:28
	ds_read_b64 v[14:15], v1
	ds_read_b64 v[18:19], v1 offset:512
	ds_read_b64 v[20:21], v10 offset:480
	ds_read_b64 v[22:23], v11
	v_add_u32_e32 v10, 4, v0
	s_waitcnt lgkmcnt(3)
	v_div_scale_f64 v[16:17], s[4:5], v[4:5], v[4:5], v[14:15]
	v_rcp_f64_e32 v[24:25], v[16:17]
	v_cmp_gt_i32_e32 vcc, s8, v10
	v_cndmask_b32_e32 v12, v36, v10, vcc
	v_lshlrev_b32_e32 v36, 3, v12
	v_fma_f64 v[10:11], -v[16:17], v[24:25], 1.0
	v_fmac_f64_e32 v[24:25], v[24:25], v[10:11]
	v_fma_f64 v[10:11], -v[16:17], v[24:25], 1.0
	v_fmac_f64_e32 v[24:25], v[24:25], v[10:11]
	ds_read2_b64 v[10:13], v36 offset1:16
	ds_read_b64 v[28:29], v9
	v_div_scale_f64 v[26:27], vcc, v[14:15], v[4:5], v[14:15]
	v_mul_f64 v[30:31], v[26:27], v[24:25]
	v_fma_f64 v[16:17], -v[16:17], v[30:31], v[26:27]
	s_waitcnt lgkmcnt(0)
	v_div_scale_f64 v[32:33], s[4:5], v[12:13], v[12:13], v[28:29]
	v_rcp_f64_e32 v[34:35], v[32:33]
	v_div_fmas_f64 v[16:17], v[16:17], v[24:25], v[30:31]
	v_div_fixup_f64 v[4:5], v[16:17], v[4:5], v[14:15]
	ds_read_b64 v[26:27], v8
	v_fma_f64 v[14:15], -v[32:33], v[34:35], 1.0
	v_fmac_f64_e32 v[34:35], v[34:35], v[14:15]
	v_fma_f64 v[14:15], -v[32:33], v[34:35], 1.0
	v_fmac_f64_e32 v[34:35], v[34:35], v[14:15]
	v_div_scale_f64 v[14:15], vcc, v[28:29], v[12:13], v[28:29]
	v_mul_f64 v[16:17], v[14:15], v[34:35]
	v_fma_f64 v[14:15], -v[32:33], v[16:17], v[14:15]
	s_waitcnt lgkmcnt(0)
	v_fma_f64 v[6:7], -v[4:5], v[6:7], v[26:27]
	v_div_fmas_f64 v[24:25], v[14:15], v[34:35], v[16:17]
	ds_read2_b64 v[14:17], v36 offset0:32 offset1:64
	v_div_fixup_f64 v[12:13], v[24:25], v[12:13], v[28:29]
	v_fma_f64 v[6:7], -v[12:13], v[10:11], v[6:7]
	v_fma_f64 v[10:11], -v[4:5], v[20:21], v[18:19]
	v_cmp_gt_u32_e32 vcc, 8, v0
	s_waitcnt lgkmcnt(0)
	v_fma_f64 v[10:11], -v[12:13], v[16:17], v[10:11]
	v_mul_f64 v[4:5], v[4:5], -v[22:23]
	v_mul_f64 v[12:13], v[12:13], -v[14:15]
	s_waitcnt lgkmcnt(0)
	; wave barrier
	ds_write_b64 v8, v[6:7]
	ds_write_b64 v1, v[10:11] offset:512
	ds_write_b64 v1, v[4:5]
	ds_write_b64 v9, v[12:13]
	s_waitcnt lgkmcnt(0)
	; wave barrier
	s_waitcnt lgkmcnt(0)
	s_and_saveexec_b64 s[4:5], vcc
	s_cbranch_execz .LBB32_14
; %bb.9:
	v_or_b32_e32 v6, 8, v0
	v_or_b32_e32 v7, 0x200, v1
	v_cmp_le_i32_e32 vcc, s8, v6
                                        ; implicit-def: $vgpr4_vgpr5
	s_and_saveexec_b64 s[6:7], vcc
	s_xor_b64 s[6:7], exec, s[6:7]
	s_cbranch_execz .LBB32_11
; %bb.10:
	ds_read_b64 v[4:5], v7
	ds_read_b64 v[6:7], v8
	s_waitcnt lgkmcnt(0)
	v_div_scale_f64 v[8:9], s[8:9], v[6:7], v[6:7], v[4:5]
	v_rcp_f64_e32 v[10:11], v[8:9]
	v_div_scale_f64 v[12:13], vcc, v[4:5], v[6:7], v[4:5]
	v_fma_f64 v[14:15], -v[8:9], v[10:11], 1.0
	v_fmac_f64_e32 v[10:11], v[10:11], v[14:15]
	v_fma_f64 v[14:15], -v[8:9], v[10:11], 1.0
	v_fmac_f64_e32 v[10:11], v[10:11], v[14:15]
	v_mul_f64 v[14:15], v[12:13], v[10:11]
	v_fma_f64 v[8:9], -v[8:9], v[14:15], v[12:13]
	v_div_fmas_f64 v[8:9], v[8:9], v[10:11], v[14:15]
	v_div_fixup_f64 v[4:5], v[8:9], v[6:7], v[4:5]
                                        ; implicit-def: $vgpr8
                                        ; implicit-def: $vgpr9
                                        ; implicit-def: $vgpr7
                                        ; implicit-def: $vgpr6
.LBB32_11:
	s_andn2_saveexec_b64 s[6:7], s[6:7]
	s_cbranch_execz .LBB32_13
; %bb.12:
	ds_read_b64 v[4:5], v9
	ds_read_b64 v[16:17], v1 offset:64
	ds_read2_b64 v[8:11], v8 offset1:8
	v_mov_b32_e32 v0, v6
	s_waitcnt lgkmcnt(1)
	v_mul_f64 v[12:13], v[4:5], v[16:17]
	s_waitcnt lgkmcnt(0)
	v_fma_f64 v[18:19], v[10:11], v[8:9], -v[12:13]
	v_div_scale_f64 v[20:21], s[8:9], v[18:19], v[18:19], 1.0
	v_rcp_f64_e32 v[22:23], v[20:21]
	ds_read2_b64 v[12:15], v7 offset1:8
	v_div_scale_f64 v[24:25], vcc, 1.0, v[18:19], 1.0
	v_fma_f64 v[26:27], -v[20:21], v[22:23], 1.0
	v_fmac_f64_e32 v[22:23], v[22:23], v[26:27]
	v_fma_f64 v[26:27], -v[20:21], v[22:23], 1.0
	v_fmac_f64_e32 v[22:23], v[22:23], v[26:27]
	v_mul_f64 v[26:27], v[24:25], v[22:23]
	v_fma_f64 v[20:21], -v[20:21], v[26:27], v[24:25]
	v_div_fmas_f64 v[20:21], v[20:21], v[22:23], v[26:27]
	s_waitcnt lgkmcnt(0)
	v_mul_f64 v[4:5], v[4:5], v[14:15]
	v_div_fixup_f64 v[18:19], v[20:21], v[18:19], 1.0
	v_fma_f64 v[4:5], v[10:11], v[12:13], -v[4:5]
	v_mul_f64 v[4:5], v[18:19], v[4:5]
	ds_write_b64 v1, v[4:5] offset:384
	v_mul_f64 v[4:5], v[16:17], v[12:13]
	v_fma_f64 v[4:5], v[8:9], v[14:15], -v[4:5]
	v_mul_f64 v[4:5], v[18:19], v[4:5]
.LBB32_13:
	s_or_b64 exec, exec, s[6:7]
	v_lshlrev_b32_e32 v0, 3, v0
	ds_write_b64 v0, v[4:5] offset:384
.LBB32_14:
	s_or_b64 exec, exec, s[4:5]
	s_waitcnt lgkmcnt(0)
	; wave barrier
	s_waitcnt lgkmcnt(0)
	s_and_saveexec_b64 s[4:5], s[0:1]
	s_cbranch_execz .LBB32_16
; %bb.15:
	ds_read_b64 v[0:1], v1 offset:384
	v_lshlrev_b64 v[2:3], 3, v[2:3]
	v_mov_b32_e32 v4, s3
	v_add_co_u32_e32 v2, vcc, s2, v2
	v_addc_co_u32_e32 v3, vcc, v4, v3, vcc
	s_waitcnt lgkmcnt(0)
	global_store_dwordx2 v[2:3], v[0:1], off
.LBB32_16:
	s_endpgm
	.section	.rodata,"a",@progbits
	.p2align	6, 0x0
	.amdhsa_kernel _ZN9rocsparseL44gtsv_nopivot_strided_batch_pcr_shared_kernelILj16EdEEviiiPKT0_S3_S3_PS1_
		.amdhsa_group_segment_fixed_size 640
		.amdhsa_private_segment_fixed_size 0
		.amdhsa_kernarg_size 48
		.amdhsa_user_sgpr_count 6
		.amdhsa_user_sgpr_private_segment_buffer 1
		.amdhsa_user_sgpr_dispatch_ptr 0
		.amdhsa_user_sgpr_queue_ptr 0
		.amdhsa_user_sgpr_kernarg_segment_ptr 1
		.amdhsa_user_sgpr_dispatch_id 0
		.amdhsa_user_sgpr_flat_scratch_init 0
		.amdhsa_user_sgpr_kernarg_preload_length 0
		.amdhsa_user_sgpr_kernarg_preload_offset 0
		.amdhsa_user_sgpr_private_segment_size 0
		.amdhsa_uses_dynamic_stack 0
		.amdhsa_system_sgpr_private_segment_wavefront_offset 0
		.amdhsa_system_sgpr_workgroup_id_x 1
		.amdhsa_system_sgpr_workgroup_id_y 0
		.amdhsa_system_sgpr_workgroup_id_z 0
		.amdhsa_system_sgpr_workgroup_info 0
		.amdhsa_system_vgpr_workitem_id 0
		.amdhsa_next_free_vgpr 38
		.amdhsa_next_free_sgpr 10
		.amdhsa_accum_offset 40
		.amdhsa_reserve_vcc 1
		.amdhsa_reserve_flat_scratch 0
		.amdhsa_float_round_mode_32 0
		.amdhsa_float_round_mode_16_64 0
		.amdhsa_float_denorm_mode_32 3
		.amdhsa_float_denorm_mode_16_64 3
		.amdhsa_dx10_clamp 1
		.amdhsa_ieee_mode 1
		.amdhsa_fp16_overflow 0
		.amdhsa_tg_split 0
		.amdhsa_exception_fp_ieee_invalid_op 0
		.amdhsa_exception_fp_denorm_src 0
		.amdhsa_exception_fp_ieee_div_zero 0
		.amdhsa_exception_fp_ieee_overflow 0
		.amdhsa_exception_fp_ieee_underflow 0
		.amdhsa_exception_fp_ieee_inexact 0
		.amdhsa_exception_int_div_zero 0
	.end_amdhsa_kernel
	.section	.text._ZN9rocsparseL44gtsv_nopivot_strided_batch_pcr_shared_kernelILj16EdEEviiiPKT0_S3_S3_PS1_,"axG",@progbits,_ZN9rocsparseL44gtsv_nopivot_strided_batch_pcr_shared_kernelILj16EdEEviiiPKT0_S3_S3_PS1_,comdat
.Lfunc_end32:
	.size	_ZN9rocsparseL44gtsv_nopivot_strided_batch_pcr_shared_kernelILj16EdEEviiiPKT0_S3_S3_PS1_, .Lfunc_end32-_ZN9rocsparseL44gtsv_nopivot_strided_batch_pcr_shared_kernelILj16EdEEviiiPKT0_S3_S3_PS1_
                                        ; -- End function
	.section	.AMDGPU.csdata,"",@progbits
; Kernel info:
; codeLenInByte = 1864
; NumSgprs: 14
; NumVgprs: 38
; NumAgprs: 0
; TotalNumVgprs: 38
; ScratchSize: 0
; MemoryBound: 0
; FloatMode: 240
; IeeeMode: 1
; LDSByteSize: 640 bytes/workgroup (compile time only)
; SGPRBlocks: 1
; VGPRBlocks: 4
; NumSGPRsForWavesPerEU: 14
; NumVGPRsForWavesPerEU: 38
; AccumOffset: 40
; Occupancy: 8
; WaveLimiterHint : 0
; COMPUTE_PGM_RSRC2:SCRATCH_EN: 0
; COMPUTE_PGM_RSRC2:USER_SGPR: 6
; COMPUTE_PGM_RSRC2:TRAP_HANDLER: 0
; COMPUTE_PGM_RSRC2:TGID_X_EN: 1
; COMPUTE_PGM_RSRC2:TGID_Y_EN: 0
; COMPUTE_PGM_RSRC2:TGID_Z_EN: 0
; COMPUTE_PGM_RSRC2:TIDIG_COMP_CNT: 0
; COMPUTE_PGM_RSRC3_GFX90A:ACCUM_OFFSET: 9
; COMPUTE_PGM_RSRC3_GFX90A:TG_SPLIT: 0
	.section	.text._ZN9rocsparseL44gtsv_nopivot_strided_batch_pcr_shared_kernelILj32EdEEviiiPKT0_S3_S3_PS1_,"axG",@progbits,_ZN9rocsparseL44gtsv_nopivot_strided_batch_pcr_shared_kernelILj32EdEEviiiPKT0_S3_S3_PS1_,comdat
	.globl	_ZN9rocsparseL44gtsv_nopivot_strided_batch_pcr_shared_kernelILj32EdEEviiiPKT0_S3_S3_PS1_ ; -- Begin function _ZN9rocsparseL44gtsv_nopivot_strided_batch_pcr_shared_kernelILj32EdEEviiiPKT0_S3_S3_PS1_
	.p2align	8
	.type	_ZN9rocsparseL44gtsv_nopivot_strided_batch_pcr_shared_kernelILj32EdEEviiiPKT0_S3_S3_PS1_,@function
_ZN9rocsparseL44gtsv_nopivot_strided_batch_pcr_shared_kernelILj32EdEEviiiPKT0_S3_S3_PS1_: ; @_ZN9rocsparseL44gtsv_nopivot_strided_batch_pcr_shared_kernelILj32EdEEviiiPKT0_S3_S3_PS1_
; %bb.0:
	s_load_dword s0, s[4:5], 0x8
	s_load_dword s8, s[4:5], 0x0
	v_pk_mov_b32 v[4:5], 0, 0
	v_pk_mov_b32 v[6:7], v[4:5], v[4:5] op_sel:[0,1]
	s_waitcnt lgkmcnt(0)
	s_mul_i32 s6, s6, s0
	v_add_u32_e32 v2, s6, v0
	v_cmp_gt_i32_e64 s[0:1], s8, v0
	v_ashrrev_i32_e32 v3, 31, v2
	s_and_saveexec_b64 s[2:3], s[0:1]
	s_cbranch_execz .LBB33_2
; %bb.1:
	s_load_dwordx2 s[6:7], s[4:5], 0x10
	v_lshlrev_b64 v[6:7], 3, v[2:3]
	s_waitcnt lgkmcnt(0)
	v_mov_b32_e32 v1, s7
	v_add_co_u32_e32 v6, vcc, s6, v6
	v_addc_co_u32_e32 v7, vcc, v1, v7, vcc
	global_load_dwordx2 v[6:7], v[6:7], off
.LBB33_2:
	s_or_b64 exec, exec, s[2:3]
	v_lshlrev_b32_e32 v1, 3, v0
	s_waitcnt vmcnt(0)
	ds_write_b64 v1, v[6:7]
	s_and_saveexec_b64 s[2:3], s[0:1]
	s_cbranch_execz .LBB33_4
; %bb.3:
	s_load_dwordx2 s[6:7], s[4:5], 0x18
	v_lshlrev_b64 v[4:5], 3, v[2:3]
	s_waitcnt lgkmcnt(0)
	v_mov_b32_e32 v6, s7
	v_add_co_u32_e32 v4, vcc, s6, v4
	v_addc_co_u32_e32 v5, vcc, v6, v5, vcc
	global_load_dwordx2 v[4:5], v[4:5], off
.LBB33_4:
	s_or_b64 exec, exec, s[2:3]
	s_load_dwordx2 s[2:3], s[4:5], 0x28
	s_waitcnt vmcnt(0)
	ds_write_b64 v1, v[4:5] offset:256
	v_pk_mov_b32 v[4:5], 0, 0
	v_pk_mov_b32 v[6:7], v[4:5], v[4:5] op_sel:[0,1]
	s_and_saveexec_b64 s[6:7], s[0:1]
	s_cbranch_execz .LBB33_6
; %bb.5:
	s_load_dwordx2 s[4:5], s[4:5], 0x20
	v_lshlrev_b64 v[6:7], 3, v[2:3]
	s_waitcnt lgkmcnt(0)
	v_mov_b32_e32 v8, s5
	v_add_co_u32_e32 v6, vcc, s4, v6
	v_addc_co_u32_e32 v7, vcc, v8, v7, vcc
	global_load_dwordx2 v[6:7], v[6:7], off
.LBB33_6:
	s_or_b64 exec, exec, s[6:7]
	v_or_b32_e32 v8, 0x100, v1
	v_or_b32_e32 v9, 0x200, v1
	s_waitcnt vmcnt(0)
	ds_write_b64 v1, v[6:7] offset:512
	s_and_saveexec_b64 s[4:5], s[0:1]
	s_cbranch_execz .LBB33_8
; %bb.7:
	v_lshlrev_b64 v[4:5], 3, v[2:3]
	s_waitcnt lgkmcnt(0)
	v_mov_b32_e32 v6, s3
	v_add_co_u32_e32 v4, vcc, s2, v4
	v_addc_co_u32_e32 v5, vcc, v6, v5, vcc
	global_load_dwordx2 v[4:5], v[4:5], off
.LBB33_8:
	s_or_b64 exec, exec, s[4:5]
	s_waitcnt vmcnt(0)
	ds_write_b64 v1, v[4:5] offset:1024
	v_max_u32_e32 v4, 1, v0
	v_lshlrev_b32_e32 v11, 3, v4
	s_waitcnt lgkmcnt(0)
	; wave barrier
	s_waitcnt lgkmcnt(0)
	v_add_u32_e32 v12, -8, v11
	ds_read2_b64 v[4:7], v11 offset0:31 offset1:63
	ds_read_b64 v[14:15], v1
	ds_read_b64 v[18:19], v1 offset:1024
	ds_read_b64 v[20:21], v11 offset:1016
	ds_read_b64 v[22:23], v12
	s_add_i32 s6, s8, -1
	s_waitcnt lgkmcnt(3)
	v_div_scale_f64 v[16:17], s[4:5], v[4:5], v[4:5], v[14:15]
	v_rcp_f64_e32 v[24:25], v[16:17]
	v_add_u32_e32 v10, 1, v0
	v_mov_b32_e32 v36, s6
	v_cmp_gt_i32_e32 vcc, s8, v10
	v_cndmask_b32_e32 v12, v36, v10, vcc
	v_fma_f64 v[10:11], -v[16:17], v[24:25], 1.0
	v_fmac_f64_e32 v[24:25], v[24:25], v[10:11]
	v_fma_f64 v[10:11], -v[16:17], v[24:25], 1.0
	v_lshlrev_b32_e32 v37, 3, v12
	v_fmac_f64_e32 v[24:25], v[24:25], v[10:11]
	ds_read2_b64 v[10:13], v37 offset1:32
	ds_read_b64 v[28:29], v9
	v_div_scale_f64 v[26:27], vcc, v[14:15], v[4:5], v[14:15]
	v_mul_f64 v[30:31], v[26:27], v[24:25]
	v_fma_f64 v[16:17], -v[16:17], v[30:31], v[26:27]
	s_waitcnt lgkmcnt(0)
	v_div_scale_f64 v[32:33], s[4:5], v[12:13], v[12:13], v[28:29]
	v_rcp_f64_e32 v[34:35], v[32:33]
	v_div_fmas_f64 v[16:17], v[16:17], v[24:25], v[30:31]
	v_div_fixup_f64 v[4:5], v[16:17], v[4:5], v[14:15]
	ds_read_b64 v[26:27], v8
	v_fma_f64 v[14:15], -v[32:33], v[34:35], 1.0
	v_fmac_f64_e32 v[34:35], v[34:35], v[14:15]
	v_fma_f64 v[14:15], -v[32:33], v[34:35], 1.0
	v_fmac_f64_e32 v[34:35], v[34:35], v[14:15]
	v_div_scale_f64 v[14:15], vcc, v[28:29], v[12:13], v[28:29]
	v_mul_f64 v[16:17], v[14:15], v[34:35]
	v_fma_f64 v[14:15], -v[32:33], v[16:17], v[14:15]
	s_waitcnt lgkmcnt(0)
	v_fma_f64 v[6:7], -v[4:5], v[6:7], v[26:27]
	v_div_fmas_f64 v[24:25], v[14:15], v[34:35], v[16:17]
	ds_read2st64_b64 v[14:17], v37 offset0:1 offset1:2
	v_div_fixup_f64 v[12:13], v[24:25], v[12:13], v[28:29]
	v_fma_f64 v[6:7], -v[12:13], v[10:11], v[6:7]
	v_fma_f64 v[10:11], -v[4:5], v[20:21], v[18:19]
	v_mul_f64 v[4:5], v[4:5], -v[22:23]
	s_waitcnt lgkmcnt(0)
	v_fma_f64 v[10:11], -v[12:13], v[16:17], v[10:11]
	v_mul_f64 v[12:13], v[12:13], -v[14:15]
	s_waitcnt lgkmcnt(0)
	; wave barrier
	ds_write_b64 v8, v[6:7]
	ds_write_b64 v1, v[10:11] offset:1024
	ds_write_b64 v1, v[4:5]
	ds_write_b64 v9, v[12:13]
	v_max_u32_e32 v4, 2, v0
	v_lshlrev_b32_e32 v10, 3, v4
	s_waitcnt lgkmcnt(0)
	; wave barrier
	s_waitcnt lgkmcnt(0)
	v_add_u32_e32 v11, -16, v10
	ds_read2_b64 v[4:7], v10 offset0:30 offset1:62
	ds_read_b64 v[14:15], v1
	ds_read_b64 v[18:19], v1 offset:1024
	ds_read_b64 v[20:21], v10 offset:1008
	ds_read_b64 v[22:23], v11
	v_add_u32_e32 v10, 2, v0
	s_waitcnt lgkmcnt(3)
	v_div_scale_f64 v[16:17], s[4:5], v[4:5], v[4:5], v[14:15]
	v_rcp_f64_e32 v[24:25], v[16:17]
	v_cmp_gt_i32_e32 vcc, s8, v10
	v_cndmask_b32_e32 v12, v36, v10, vcc
	v_lshlrev_b32_e32 v37, 3, v12
	v_fma_f64 v[10:11], -v[16:17], v[24:25], 1.0
	v_fmac_f64_e32 v[24:25], v[24:25], v[10:11]
	v_fma_f64 v[10:11], -v[16:17], v[24:25], 1.0
	v_fmac_f64_e32 v[24:25], v[24:25], v[10:11]
	ds_read2_b64 v[10:13], v37 offset1:32
	ds_read_b64 v[28:29], v9
	v_div_scale_f64 v[26:27], vcc, v[14:15], v[4:5], v[14:15]
	v_mul_f64 v[30:31], v[26:27], v[24:25]
	v_fma_f64 v[16:17], -v[16:17], v[30:31], v[26:27]
	s_waitcnt lgkmcnt(0)
	v_div_scale_f64 v[32:33], s[4:5], v[12:13], v[12:13], v[28:29]
	v_rcp_f64_e32 v[34:35], v[32:33]
	v_div_fmas_f64 v[16:17], v[16:17], v[24:25], v[30:31]
	v_div_fixup_f64 v[4:5], v[16:17], v[4:5], v[14:15]
	ds_read_b64 v[26:27], v8
	v_fma_f64 v[14:15], -v[32:33], v[34:35], 1.0
	v_fmac_f64_e32 v[34:35], v[34:35], v[14:15]
	v_fma_f64 v[14:15], -v[32:33], v[34:35], 1.0
	v_fmac_f64_e32 v[34:35], v[34:35], v[14:15]
	v_div_scale_f64 v[14:15], vcc, v[28:29], v[12:13], v[28:29]
	v_mul_f64 v[16:17], v[14:15], v[34:35]
	v_fma_f64 v[14:15], -v[32:33], v[16:17], v[14:15]
	s_waitcnt lgkmcnt(0)
	v_fma_f64 v[6:7], -v[4:5], v[6:7], v[26:27]
	v_div_fmas_f64 v[24:25], v[14:15], v[34:35], v[16:17]
	ds_read2st64_b64 v[14:17], v37 offset0:1 offset1:2
	v_div_fixup_f64 v[12:13], v[24:25], v[12:13], v[28:29]
	v_fma_f64 v[6:7], -v[12:13], v[10:11], v[6:7]
	v_fma_f64 v[10:11], -v[4:5], v[20:21], v[18:19]
	v_mul_f64 v[4:5], v[4:5], -v[22:23]
	s_waitcnt lgkmcnt(0)
	v_fma_f64 v[10:11], -v[12:13], v[16:17], v[10:11]
	v_mul_f64 v[12:13], v[12:13], -v[14:15]
	s_waitcnt lgkmcnt(0)
	; wave barrier
	ds_write_b64 v8, v[6:7]
	ds_write_b64 v1, v[10:11] offset:1024
	ds_write_b64 v1, v[4:5]
	ds_write_b64 v9, v[12:13]
	v_max_u32_e32 v4, 4, v0
	v_lshlrev_b32_e32 v10, 3, v4
	s_waitcnt lgkmcnt(0)
	; wave barrier
	s_waitcnt lgkmcnt(0)
	v_subrev_u32_e32 v11, 32, v10
	ds_read2_b64 v[4:7], v10 offset0:28 offset1:60
	ds_read_b64 v[14:15], v1
	ds_read_b64 v[18:19], v1 offset:1024
	ds_read_b64 v[20:21], v10 offset:992
	ds_read_b64 v[22:23], v11
	v_add_u32_e32 v10, 4, v0
	s_waitcnt lgkmcnt(3)
	v_div_scale_f64 v[16:17], s[4:5], v[4:5], v[4:5], v[14:15]
	v_rcp_f64_e32 v[24:25], v[16:17]
	v_cmp_gt_i32_e32 vcc, s8, v10
	v_cndmask_b32_e32 v12, v36, v10, vcc
	v_lshlrev_b32_e32 v37, 3, v12
	v_fma_f64 v[10:11], -v[16:17], v[24:25], 1.0
	v_fmac_f64_e32 v[24:25], v[24:25], v[10:11]
	v_fma_f64 v[10:11], -v[16:17], v[24:25], 1.0
	v_fmac_f64_e32 v[24:25], v[24:25], v[10:11]
	ds_read2_b64 v[10:13], v37 offset1:32
	ds_read_b64 v[28:29], v9
	v_div_scale_f64 v[26:27], vcc, v[14:15], v[4:5], v[14:15]
	v_mul_f64 v[30:31], v[26:27], v[24:25]
	v_fma_f64 v[16:17], -v[16:17], v[30:31], v[26:27]
	s_waitcnt lgkmcnt(0)
	v_div_scale_f64 v[32:33], s[4:5], v[12:13], v[12:13], v[28:29]
	v_rcp_f64_e32 v[34:35], v[32:33]
	v_div_fmas_f64 v[16:17], v[16:17], v[24:25], v[30:31]
	v_div_fixup_f64 v[4:5], v[16:17], v[4:5], v[14:15]
	ds_read_b64 v[26:27], v8
	v_fma_f64 v[14:15], -v[32:33], v[34:35], 1.0
	v_fmac_f64_e32 v[34:35], v[34:35], v[14:15]
	v_fma_f64 v[14:15], -v[32:33], v[34:35], 1.0
	v_fmac_f64_e32 v[34:35], v[34:35], v[14:15]
	v_div_scale_f64 v[14:15], vcc, v[28:29], v[12:13], v[28:29]
	v_mul_f64 v[16:17], v[14:15], v[34:35]
	v_fma_f64 v[14:15], -v[32:33], v[16:17], v[14:15]
	s_waitcnt lgkmcnt(0)
	v_fma_f64 v[6:7], -v[4:5], v[6:7], v[26:27]
	v_div_fmas_f64 v[24:25], v[14:15], v[34:35], v[16:17]
	ds_read2st64_b64 v[14:17], v37 offset0:1 offset1:2
	v_div_fixup_f64 v[12:13], v[24:25], v[12:13], v[28:29]
	v_fma_f64 v[6:7], -v[12:13], v[10:11], v[6:7]
	v_fma_f64 v[10:11], -v[4:5], v[20:21], v[18:19]
	v_mul_f64 v[4:5], v[4:5], -v[22:23]
	s_waitcnt lgkmcnt(0)
	v_fma_f64 v[10:11], -v[12:13], v[16:17], v[10:11]
	v_mul_f64 v[12:13], v[12:13], -v[14:15]
	s_waitcnt lgkmcnt(0)
	; wave barrier
	ds_write_b64 v8, v[6:7]
	ds_write_b64 v1, v[10:11] offset:1024
	ds_write_b64 v1, v[4:5]
	ds_write_b64 v9, v[12:13]
	v_max_u32_e32 v4, 8, v0
	v_lshlrev_b32_e32 v10, 3, v4
	s_waitcnt lgkmcnt(0)
	; wave barrier
	s_waitcnt lgkmcnt(0)
	v_subrev_u32_e32 v11, 64, v10
	ds_read2_b64 v[4:7], v10 offset0:24 offset1:56
	ds_read_b64 v[14:15], v1
	ds_read_b64 v[18:19], v1 offset:1024
	ds_read_b64 v[20:21], v10 offset:960
	ds_read_b64 v[22:23], v11
	v_add_u32_e32 v10, 8, v0
	s_waitcnt lgkmcnt(3)
	v_div_scale_f64 v[16:17], s[4:5], v[4:5], v[4:5], v[14:15]
	v_rcp_f64_e32 v[24:25], v[16:17]
	v_cmp_gt_i32_e32 vcc, s8, v10
	v_cndmask_b32_e32 v12, v36, v10, vcc
	v_lshlrev_b32_e32 v36, 3, v12
	v_fma_f64 v[10:11], -v[16:17], v[24:25], 1.0
	v_fmac_f64_e32 v[24:25], v[24:25], v[10:11]
	v_fma_f64 v[10:11], -v[16:17], v[24:25], 1.0
	v_fmac_f64_e32 v[24:25], v[24:25], v[10:11]
	ds_read2_b64 v[10:13], v36 offset1:32
	ds_read_b64 v[28:29], v9
	v_div_scale_f64 v[26:27], vcc, v[14:15], v[4:5], v[14:15]
	v_mul_f64 v[30:31], v[26:27], v[24:25]
	v_fma_f64 v[16:17], -v[16:17], v[30:31], v[26:27]
	s_waitcnt lgkmcnt(0)
	v_div_scale_f64 v[32:33], s[4:5], v[12:13], v[12:13], v[28:29]
	v_rcp_f64_e32 v[34:35], v[32:33]
	v_div_fmas_f64 v[16:17], v[16:17], v[24:25], v[30:31]
	v_div_fixup_f64 v[4:5], v[16:17], v[4:5], v[14:15]
	ds_read_b64 v[26:27], v8
	v_fma_f64 v[14:15], -v[32:33], v[34:35], 1.0
	v_fmac_f64_e32 v[34:35], v[34:35], v[14:15]
	v_fma_f64 v[14:15], -v[32:33], v[34:35], 1.0
	v_fmac_f64_e32 v[34:35], v[34:35], v[14:15]
	v_div_scale_f64 v[14:15], vcc, v[28:29], v[12:13], v[28:29]
	v_mul_f64 v[16:17], v[14:15], v[34:35]
	v_fma_f64 v[14:15], -v[32:33], v[16:17], v[14:15]
	s_waitcnt lgkmcnt(0)
	v_fma_f64 v[6:7], -v[4:5], v[6:7], v[26:27]
	v_div_fmas_f64 v[24:25], v[14:15], v[34:35], v[16:17]
	ds_read2st64_b64 v[14:17], v36 offset0:1 offset1:2
	v_div_fixup_f64 v[12:13], v[24:25], v[12:13], v[28:29]
	v_fma_f64 v[6:7], -v[12:13], v[10:11], v[6:7]
	v_fma_f64 v[10:11], -v[4:5], v[20:21], v[18:19]
	v_cmp_gt_u32_e32 vcc, 16, v0
	s_waitcnt lgkmcnt(0)
	v_fma_f64 v[10:11], -v[12:13], v[16:17], v[10:11]
	v_mul_f64 v[4:5], v[4:5], -v[22:23]
	v_mul_f64 v[12:13], v[12:13], -v[14:15]
	s_waitcnt lgkmcnt(0)
	; wave barrier
	ds_write_b64 v8, v[6:7]
	ds_write_b64 v1, v[10:11] offset:1024
	ds_write_b64 v1, v[4:5]
	ds_write_b64 v9, v[12:13]
	s_waitcnt lgkmcnt(0)
	; wave barrier
	s_waitcnt lgkmcnt(0)
	s_and_saveexec_b64 s[4:5], vcc
	s_cbranch_execz .LBB33_14
; %bb.9:
	v_or_b32_e32 v6, 16, v0
	v_or_b32_e32 v7, 0x400, v1
	v_cmp_le_i32_e32 vcc, s8, v6
                                        ; implicit-def: $vgpr4_vgpr5
	s_and_saveexec_b64 s[6:7], vcc
	s_xor_b64 s[6:7], exec, s[6:7]
	s_cbranch_execz .LBB33_11
; %bb.10:
	ds_read_b64 v[4:5], v7
	ds_read_b64 v[6:7], v8
	s_waitcnt lgkmcnt(0)
	v_div_scale_f64 v[8:9], s[8:9], v[6:7], v[6:7], v[4:5]
	v_rcp_f64_e32 v[10:11], v[8:9]
	v_div_scale_f64 v[12:13], vcc, v[4:5], v[6:7], v[4:5]
	v_fma_f64 v[14:15], -v[8:9], v[10:11], 1.0
	v_fmac_f64_e32 v[10:11], v[10:11], v[14:15]
	v_fma_f64 v[14:15], -v[8:9], v[10:11], 1.0
	v_fmac_f64_e32 v[10:11], v[10:11], v[14:15]
	v_mul_f64 v[14:15], v[12:13], v[10:11]
	v_fma_f64 v[8:9], -v[8:9], v[14:15], v[12:13]
	v_div_fmas_f64 v[8:9], v[8:9], v[10:11], v[14:15]
	v_div_fixup_f64 v[4:5], v[8:9], v[6:7], v[4:5]
                                        ; implicit-def: $vgpr8
                                        ; implicit-def: $vgpr9
                                        ; implicit-def: $vgpr7
                                        ; implicit-def: $vgpr6
.LBB33_11:
	s_andn2_saveexec_b64 s[6:7], s[6:7]
	s_cbranch_execz .LBB33_13
; %bb.12:
	ds_read_b64 v[4:5], v9
	ds_read_b64 v[16:17], v1 offset:128
	ds_read2_b64 v[8:11], v8 offset1:16
	v_mov_b32_e32 v0, v6
	s_waitcnt lgkmcnt(1)
	v_mul_f64 v[12:13], v[4:5], v[16:17]
	s_waitcnt lgkmcnt(0)
	v_fma_f64 v[18:19], v[10:11], v[8:9], -v[12:13]
	v_div_scale_f64 v[20:21], s[8:9], v[18:19], v[18:19], 1.0
	v_rcp_f64_e32 v[22:23], v[20:21]
	ds_read2_b64 v[12:15], v7 offset1:16
	v_div_scale_f64 v[24:25], vcc, 1.0, v[18:19], 1.0
	v_fma_f64 v[26:27], -v[20:21], v[22:23], 1.0
	v_fmac_f64_e32 v[22:23], v[22:23], v[26:27]
	v_fma_f64 v[26:27], -v[20:21], v[22:23], 1.0
	v_fmac_f64_e32 v[22:23], v[22:23], v[26:27]
	v_mul_f64 v[26:27], v[24:25], v[22:23]
	v_fma_f64 v[20:21], -v[20:21], v[26:27], v[24:25]
	v_div_fmas_f64 v[20:21], v[20:21], v[22:23], v[26:27]
	s_waitcnt lgkmcnt(0)
	v_mul_f64 v[4:5], v[4:5], v[14:15]
	v_div_fixup_f64 v[18:19], v[20:21], v[18:19], 1.0
	v_fma_f64 v[4:5], v[10:11], v[12:13], -v[4:5]
	v_mul_f64 v[4:5], v[18:19], v[4:5]
	ds_write_b64 v1, v[4:5] offset:768
	v_mul_f64 v[4:5], v[16:17], v[12:13]
	v_fma_f64 v[4:5], v[8:9], v[14:15], -v[4:5]
	v_mul_f64 v[4:5], v[18:19], v[4:5]
.LBB33_13:
	s_or_b64 exec, exec, s[6:7]
	v_lshlrev_b32_e32 v0, 3, v0
	ds_write_b64 v0, v[4:5] offset:768
.LBB33_14:
	s_or_b64 exec, exec, s[4:5]
	s_waitcnt lgkmcnt(0)
	; wave barrier
	s_waitcnt lgkmcnt(0)
	s_and_saveexec_b64 s[4:5], s[0:1]
	s_cbranch_execz .LBB33_16
; %bb.15:
	ds_read_b64 v[0:1], v1 offset:768
	v_lshlrev_b64 v[2:3], 3, v[2:3]
	v_mov_b32_e32 v4, s3
	v_add_co_u32_e32 v2, vcc, s2, v2
	v_addc_co_u32_e32 v3, vcc, v4, v3, vcc
	s_waitcnt lgkmcnt(0)
	global_store_dwordx2 v[2:3], v[0:1], off
.LBB33_16:
	s_endpgm
	.section	.rodata,"a",@progbits
	.p2align	6, 0x0
	.amdhsa_kernel _ZN9rocsparseL44gtsv_nopivot_strided_batch_pcr_shared_kernelILj32EdEEviiiPKT0_S3_S3_PS1_
		.amdhsa_group_segment_fixed_size 1280
		.amdhsa_private_segment_fixed_size 0
		.amdhsa_kernarg_size 48
		.amdhsa_user_sgpr_count 6
		.amdhsa_user_sgpr_private_segment_buffer 1
		.amdhsa_user_sgpr_dispatch_ptr 0
		.amdhsa_user_sgpr_queue_ptr 0
		.amdhsa_user_sgpr_kernarg_segment_ptr 1
		.amdhsa_user_sgpr_dispatch_id 0
		.amdhsa_user_sgpr_flat_scratch_init 0
		.amdhsa_user_sgpr_kernarg_preload_length 0
		.amdhsa_user_sgpr_kernarg_preload_offset 0
		.amdhsa_user_sgpr_private_segment_size 0
		.amdhsa_uses_dynamic_stack 0
		.amdhsa_system_sgpr_private_segment_wavefront_offset 0
		.amdhsa_system_sgpr_workgroup_id_x 1
		.amdhsa_system_sgpr_workgroup_id_y 0
		.amdhsa_system_sgpr_workgroup_id_z 0
		.amdhsa_system_sgpr_workgroup_info 0
		.amdhsa_system_vgpr_workitem_id 0
		.amdhsa_next_free_vgpr 38
		.amdhsa_next_free_sgpr 10
		.amdhsa_accum_offset 40
		.amdhsa_reserve_vcc 1
		.amdhsa_reserve_flat_scratch 0
		.amdhsa_float_round_mode_32 0
		.amdhsa_float_round_mode_16_64 0
		.amdhsa_float_denorm_mode_32 3
		.amdhsa_float_denorm_mode_16_64 3
		.amdhsa_dx10_clamp 1
		.amdhsa_ieee_mode 1
		.amdhsa_fp16_overflow 0
		.amdhsa_tg_split 0
		.amdhsa_exception_fp_ieee_invalid_op 0
		.amdhsa_exception_fp_denorm_src 0
		.amdhsa_exception_fp_ieee_div_zero 0
		.amdhsa_exception_fp_ieee_overflow 0
		.amdhsa_exception_fp_ieee_underflow 0
		.amdhsa_exception_fp_ieee_inexact 0
		.amdhsa_exception_int_div_zero 0
	.end_amdhsa_kernel
	.section	.text._ZN9rocsparseL44gtsv_nopivot_strided_batch_pcr_shared_kernelILj32EdEEviiiPKT0_S3_S3_PS1_,"axG",@progbits,_ZN9rocsparseL44gtsv_nopivot_strided_batch_pcr_shared_kernelILj32EdEEviiiPKT0_S3_S3_PS1_,comdat
.Lfunc_end33:
	.size	_ZN9rocsparseL44gtsv_nopivot_strided_batch_pcr_shared_kernelILj32EdEEviiiPKT0_S3_S3_PS1_, .Lfunc_end33-_ZN9rocsparseL44gtsv_nopivot_strided_batch_pcr_shared_kernelILj32EdEEviiiPKT0_S3_S3_PS1_
                                        ; -- End function
	.section	.AMDGPU.csdata,"",@progbits
; Kernel info:
; codeLenInByte = 2224
; NumSgprs: 14
; NumVgprs: 38
; NumAgprs: 0
; TotalNumVgprs: 38
; ScratchSize: 0
; MemoryBound: 0
; FloatMode: 240
; IeeeMode: 1
; LDSByteSize: 1280 bytes/workgroup (compile time only)
; SGPRBlocks: 1
; VGPRBlocks: 4
; NumSGPRsForWavesPerEU: 14
; NumVGPRsForWavesPerEU: 38
; AccumOffset: 40
; Occupancy: 8
; WaveLimiterHint : 0
; COMPUTE_PGM_RSRC2:SCRATCH_EN: 0
; COMPUTE_PGM_RSRC2:USER_SGPR: 6
; COMPUTE_PGM_RSRC2:TRAP_HANDLER: 0
; COMPUTE_PGM_RSRC2:TGID_X_EN: 1
; COMPUTE_PGM_RSRC2:TGID_Y_EN: 0
; COMPUTE_PGM_RSRC2:TGID_Z_EN: 0
; COMPUTE_PGM_RSRC2:TIDIG_COMP_CNT: 0
; COMPUTE_PGM_RSRC3_GFX90A:ACCUM_OFFSET: 9
; COMPUTE_PGM_RSRC3_GFX90A:TG_SPLIT: 0
	.section	.text._ZN9rocsparseL44gtsv_nopivot_strided_batch_pcr_shared_kernelILj64EdEEviiiPKT0_S3_S3_PS1_,"axG",@progbits,_ZN9rocsparseL44gtsv_nopivot_strided_batch_pcr_shared_kernelILj64EdEEviiiPKT0_S3_S3_PS1_,comdat
	.globl	_ZN9rocsparseL44gtsv_nopivot_strided_batch_pcr_shared_kernelILj64EdEEviiiPKT0_S3_S3_PS1_ ; -- Begin function _ZN9rocsparseL44gtsv_nopivot_strided_batch_pcr_shared_kernelILj64EdEEviiiPKT0_S3_S3_PS1_
	.p2align	8
	.type	_ZN9rocsparseL44gtsv_nopivot_strided_batch_pcr_shared_kernelILj64EdEEviiiPKT0_S3_S3_PS1_,@function
_ZN9rocsparseL44gtsv_nopivot_strided_batch_pcr_shared_kernelILj64EdEEviiiPKT0_S3_S3_PS1_: ; @_ZN9rocsparseL44gtsv_nopivot_strided_batch_pcr_shared_kernelILj64EdEEviiiPKT0_S3_S3_PS1_
; %bb.0:
	s_load_dword s0, s[4:5], 0x8
	s_load_dword s8, s[4:5], 0x0
	v_pk_mov_b32 v[4:5], 0, 0
	v_pk_mov_b32 v[6:7], v[4:5], v[4:5] op_sel:[0,1]
	s_waitcnt lgkmcnt(0)
	s_mul_i32 s6, s6, s0
	v_add_u32_e32 v2, s6, v0
	v_cmp_gt_i32_e64 s[0:1], s8, v0
	v_ashrrev_i32_e32 v3, 31, v2
	s_and_saveexec_b64 s[2:3], s[0:1]
	s_cbranch_execz .LBB34_2
; %bb.1:
	s_load_dwordx2 s[6:7], s[4:5], 0x10
	v_lshlrev_b64 v[6:7], 3, v[2:3]
	s_waitcnt lgkmcnt(0)
	v_mov_b32_e32 v1, s7
	v_add_co_u32_e32 v6, vcc, s6, v6
	v_addc_co_u32_e32 v7, vcc, v1, v7, vcc
	global_load_dwordx2 v[6:7], v[6:7], off
.LBB34_2:
	s_or_b64 exec, exec, s[2:3]
	v_lshlrev_b32_e32 v1, 3, v0
	s_waitcnt vmcnt(0)
	ds_write_b64 v1, v[6:7]
	s_and_saveexec_b64 s[2:3], s[0:1]
	s_cbranch_execz .LBB34_4
; %bb.3:
	s_load_dwordx2 s[6:7], s[4:5], 0x18
	v_lshlrev_b64 v[4:5], 3, v[2:3]
	s_waitcnt lgkmcnt(0)
	v_mov_b32_e32 v6, s7
	v_add_co_u32_e32 v4, vcc, s6, v4
	v_addc_co_u32_e32 v5, vcc, v6, v5, vcc
	global_load_dwordx2 v[4:5], v[4:5], off
.LBB34_4:
	s_or_b64 exec, exec, s[2:3]
	s_load_dwordx2 s[2:3], s[4:5], 0x28
	s_waitcnt vmcnt(0)
	ds_write_b64 v1, v[4:5] offset:512
	v_pk_mov_b32 v[4:5], 0, 0
	v_pk_mov_b32 v[6:7], v[4:5], v[4:5] op_sel:[0,1]
	s_and_saveexec_b64 s[6:7], s[0:1]
	s_cbranch_execz .LBB34_6
; %bb.5:
	s_load_dwordx2 s[4:5], s[4:5], 0x20
	v_lshlrev_b64 v[6:7], 3, v[2:3]
	s_waitcnt lgkmcnt(0)
	v_mov_b32_e32 v8, s5
	v_add_co_u32_e32 v6, vcc, s4, v6
	v_addc_co_u32_e32 v7, vcc, v8, v7, vcc
	global_load_dwordx2 v[6:7], v[6:7], off
.LBB34_6:
	s_or_b64 exec, exec, s[6:7]
	v_or_b32_e32 v8, 0x200, v1
	v_or_b32_e32 v9, 0x400, v1
	s_waitcnt vmcnt(0)
	ds_write_b64 v1, v[6:7] offset:1024
	s_and_saveexec_b64 s[4:5], s[0:1]
	s_cbranch_execz .LBB34_8
; %bb.7:
	v_lshlrev_b64 v[4:5], 3, v[2:3]
	s_waitcnt lgkmcnt(0)
	v_mov_b32_e32 v6, s3
	v_add_co_u32_e32 v4, vcc, s2, v4
	v_addc_co_u32_e32 v5, vcc, v6, v5, vcc
	global_load_dwordx2 v[4:5], v[4:5], off
.LBB34_8:
	s_or_b64 exec, exec, s[4:5]
	s_waitcnt vmcnt(0)
	ds_write_b64 v1, v[4:5] offset:2048
	v_max_u32_e32 v4, 1, v0
	v_lshlrev_b32_e32 v11, 3, v4
	s_waitcnt lgkmcnt(0)
	; wave barrier
	s_waitcnt lgkmcnt(0)
	v_add_u32_e32 v12, -8, v11
	ds_read2_b64 v[4:7], v11 offset0:63 offset1:127
	ds_read_b64 v[14:15], v1
	ds_read_b64 v[18:19], v1 offset:2048
	ds_read_b64 v[20:21], v11 offset:2040
	ds_read_b64 v[22:23], v12
	s_add_i32 s6, s8, -1
	s_waitcnt lgkmcnt(3)
	v_div_scale_f64 v[16:17], s[4:5], v[4:5], v[4:5], v[14:15]
	v_rcp_f64_e32 v[24:25], v[16:17]
	v_add_u32_e32 v10, 1, v0
	v_mov_b32_e32 v36, s6
	v_cmp_gt_i32_e32 vcc, s8, v10
	v_cndmask_b32_e32 v12, v36, v10, vcc
	v_fma_f64 v[10:11], -v[16:17], v[24:25], 1.0
	v_fmac_f64_e32 v[24:25], v[24:25], v[10:11]
	v_fma_f64 v[10:11], -v[16:17], v[24:25], 1.0
	v_lshlrev_b32_e32 v37, 3, v12
	v_fmac_f64_e32 v[24:25], v[24:25], v[10:11]
	ds_read2st64_b64 v[10:13], v37 offset1:1
	ds_read_b64 v[28:29], v9
	v_div_scale_f64 v[26:27], vcc, v[14:15], v[4:5], v[14:15]
	v_mul_f64 v[30:31], v[26:27], v[24:25]
	v_fma_f64 v[16:17], -v[16:17], v[30:31], v[26:27]
	s_waitcnt lgkmcnt(0)
	v_div_scale_f64 v[32:33], s[4:5], v[12:13], v[12:13], v[28:29]
	v_rcp_f64_e32 v[34:35], v[32:33]
	v_div_fmas_f64 v[16:17], v[16:17], v[24:25], v[30:31]
	v_div_fixup_f64 v[4:5], v[16:17], v[4:5], v[14:15]
	ds_read_b64 v[26:27], v8
	v_fma_f64 v[14:15], -v[32:33], v[34:35], 1.0
	v_fmac_f64_e32 v[34:35], v[34:35], v[14:15]
	v_fma_f64 v[14:15], -v[32:33], v[34:35], 1.0
	v_fmac_f64_e32 v[34:35], v[34:35], v[14:15]
	v_div_scale_f64 v[14:15], vcc, v[28:29], v[12:13], v[28:29]
	v_mul_f64 v[16:17], v[14:15], v[34:35]
	v_fma_f64 v[14:15], -v[32:33], v[16:17], v[14:15]
	s_waitcnt lgkmcnt(0)
	v_fma_f64 v[6:7], -v[4:5], v[6:7], v[26:27]
	v_div_fmas_f64 v[24:25], v[14:15], v[34:35], v[16:17]
	ds_read2st64_b64 v[14:17], v37 offset0:2 offset1:4
	v_div_fixup_f64 v[12:13], v[24:25], v[12:13], v[28:29]
	v_fma_f64 v[6:7], -v[12:13], v[10:11], v[6:7]
	v_fma_f64 v[10:11], -v[4:5], v[20:21], v[18:19]
	v_mul_f64 v[4:5], v[4:5], -v[22:23]
	s_waitcnt lgkmcnt(0)
	v_fma_f64 v[10:11], -v[12:13], v[16:17], v[10:11]
	v_mul_f64 v[12:13], v[12:13], -v[14:15]
	s_waitcnt lgkmcnt(0)
	; wave barrier
	ds_write_b64 v8, v[6:7]
	ds_write_b64 v1, v[10:11] offset:2048
	ds_write_b64 v1, v[4:5]
	ds_write_b64 v9, v[12:13]
	v_max_u32_e32 v4, 2, v0
	v_lshlrev_b32_e32 v10, 3, v4
	s_waitcnt lgkmcnt(0)
	; wave barrier
	s_waitcnt lgkmcnt(0)
	v_add_u32_e32 v11, -16, v10
	ds_read2_b64 v[4:7], v10 offset0:62 offset1:126
	ds_read_b64 v[14:15], v1
	ds_read_b64 v[18:19], v1 offset:2048
	ds_read_b64 v[20:21], v10 offset:2032
	ds_read_b64 v[22:23], v11
	v_add_u32_e32 v10, 2, v0
	s_waitcnt lgkmcnt(3)
	v_div_scale_f64 v[16:17], s[4:5], v[4:5], v[4:5], v[14:15]
	v_rcp_f64_e32 v[24:25], v[16:17]
	v_cmp_gt_i32_e32 vcc, s8, v10
	v_cndmask_b32_e32 v12, v36, v10, vcc
	v_lshlrev_b32_e32 v37, 3, v12
	v_fma_f64 v[10:11], -v[16:17], v[24:25], 1.0
	v_fmac_f64_e32 v[24:25], v[24:25], v[10:11]
	v_fma_f64 v[10:11], -v[16:17], v[24:25], 1.0
	v_fmac_f64_e32 v[24:25], v[24:25], v[10:11]
	ds_read2st64_b64 v[10:13], v37 offset1:1
	ds_read_b64 v[28:29], v9
	v_div_scale_f64 v[26:27], vcc, v[14:15], v[4:5], v[14:15]
	v_mul_f64 v[30:31], v[26:27], v[24:25]
	v_fma_f64 v[16:17], -v[16:17], v[30:31], v[26:27]
	s_waitcnt lgkmcnt(0)
	v_div_scale_f64 v[32:33], s[4:5], v[12:13], v[12:13], v[28:29]
	v_rcp_f64_e32 v[34:35], v[32:33]
	v_div_fmas_f64 v[16:17], v[16:17], v[24:25], v[30:31]
	v_div_fixup_f64 v[4:5], v[16:17], v[4:5], v[14:15]
	ds_read_b64 v[26:27], v8
	v_fma_f64 v[14:15], -v[32:33], v[34:35], 1.0
	v_fmac_f64_e32 v[34:35], v[34:35], v[14:15]
	v_fma_f64 v[14:15], -v[32:33], v[34:35], 1.0
	v_fmac_f64_e32 v[34:35], v[34:35], v[14:15]
	v_div_scale_f64 v[14:15], vcc, v[28:29], v[12:13], v[28:29]
	v_mul_f64 v[16:17], v[14:15], v[34:35]
	v_fma_f64 v[14:15], -v[32:33], v[16:17], v[14:15]
	s_waitcnt lgkmcnt(0)
	v_fma_f64 v[6:7], -v[4:5], v[6:7], v[26:27]
	v_div_fmas_f64 v[24:25], v[14:15], v[34:35], v[16:17]
	ds_read2st64_b64 v[14:17], v37 offset0:2 offset1:4
	v_div_fixup_f64 v[12:13], v[24:25], v[12:13], v[28:29]
	v_fma_f64 v[6:7], -v[12:13], v[10:11], v[6:7]
	v_fma_f64 v[10:11], -v[4:5], v[20:21], v[18:19]
	v_mul_f64 v[4:5], v[4:5], -v[22:23]
	s_waitcnt lgkmcnt(0)
	v_fma_f64 v[10:11], -v[12:13], v[16:17], v[10:11]
	v_mul_f64 v[12:13], v[12:13], -v[14:15]
	s_waitcnt lgkmcnt(0)
	; wave barrier
	ds_write_b64 v8, v[6:7]
	ds_write_b64 v1, v[10:11] offset:2048
	ds_write_b64 v1, v[4:5]
	ds_write_b64 v9, v[12:13]
	v_max_u32_e32 v4, 4, v0
	v_lshlrev_b32_e32 v10, 3, v4
	s_waitcnt lgkmcnt(0)
	; wave barrier
	s_waitcnt lgkmcnt(0)
	v_subrev_u32_e32 v11, 32, v10
	ds_read2_b64 v[4:7], v10 offset0:60 offset1:124
	ds_read_b64 v[14:15], v1
	ds_read_b64 v[18:19], v1 offset:2048
	ds_read_b64 v[20:21], v10 offset:2016
	ds_read_b64 v[22:23], v11
	v_add_u32_e32 v10, 4, v0
	s_waitcnt lgkmcnt(3)
	v_div_scale_f64 v[16:17], s[4:5], v[4:5], v[4:5], v[14:15]
	v_rcp_f64_e32 v[24:25], v[16:17]
	v_cmp_gt_i32_e32 vcc, s8, v10
	v_cndmask_b32_e32 v12, v36, v10, vcc
	v_lshlrev_b32_e32 v37, 3, v12
	v_fma_f64 v[10:11], -v[16:17], v[24:25], 1.0
	v_fmac_f64_e32 v[24:25], v[24:25], v[10:11]
	v_fma_f64 v[10:11], -v[16:17], v[24:25], 1.0
	v_fmac_f64_e32 v[24:25], v[24:25], v[10:11]
	ds_read2st64_b64 v[10:13], v37 offset1:1
	ds_read_b64 v[28:29], v9
	v_div_scale_f64 v[26:27], vcc, v[14:15], v[4:5], v[14:15]
	v_mul_f64 v[30:31], v[26:27], v[24:25]
	v_fma_f64 v[16:17], -v[16:17], v[30:31], v[26:27]
	s_waitcnt lgkmcnt(0)
	v_div_scale_f64 v[32:33], s[4:5], v[12:13], v[12:13], v[28:29]
	v_rcp_f64_e32 v[34:35], v[32:33]
	v_div_fmas_f64 v[16:17], v[16:17], v[24:25], v[30:31]
	v_div_fixup_f64 v[4:5], v[16:17], v[4:5], v[14:15]
	ds_read_b64 v[26:27], v8
	v_fma_f64 v[14:15], -v[32:33], v[34:35], 1.0
	v_fmac_f64_e32 v[34:35], v[34:35], v[14:15]
	v_fma_f64 v[14:15], -v[32:33], v[34:35], 1.0
	v_fmac_f64_e32 v[34:35], v[34:35], v[14:15]
	v_div_scale_f64 v[14:15], vcc, v[28:29], v[12:13], v[28:29]
	v_mul_f64 v[16:17], v[14:15], v[34:35]
	v_fma_f64 v[14:15], -v[32:33], v[16:17], v[14:15]
	s_waitcnt lgkmcnt(0)
	v_fma_f64 v[6:7], -v[4:5], v[6:7], v[26:27]
	v_div_fmas_f64 v[24:25], v[14:15], v[34:35], v[16:17]
	ds_read2st64_b64 v[14:17], v37 offset0:2 offset1:4
	v_div_fixup_f64 v[12:13], v[24:25], v[12:13], v[28:29]
	v_fma_f64 v[6:7], -v[12:13], v[10:11], v[6:7]
	v_fma_f64 v[10:11], -v[4:5], v[20:21], v[18:19]
	v_mul_f64 v[4:5], v[4:5], -v[22:23]
	s_waitcnt lgkmcnt(0)
	v_fma_f64 v[10:11], -v[12:13], v[16:17], v[10:11]
	v_mul_f64 v[12:13], v[12:13], -v[14:15]
	s_waitcnt lgkmcnt(0)
	; wave barrier
	ds_write_b64 v8, v[6:7]
	ds_write_b64 v1, v[10:11] offset:2048
	ds_write_b64 v1, v[4:5]
	ds_write_b64 v9, v[12:13]
	v_max_u32_e32 v4, 8, v0
	v_lshlrev_b32_e32 v10, 3, v4
	s_waitcnt lgkmcnt(0)
	; wave barrier
	s_waitcnt lgkmcnt(0)
	v_subrev_u32_e32 v11, 64, v10
	ds_read2_b64 v[4:7], v10 offset0:56 offset1:120
	ds_read_b64 v[14:15], v1
	ds_read_b64 v[18:19], v1 offset:2048
	ds_read_b64 v[20:21], v10 offset:1984
	ds_read_b64 v[22:23], v11
	v_add_u32_e32 v10, 8, v0
	s_waitcnt lgkmcnt(3)
	v_div_scale_f64 v[16:17], s[4:5], v[4:5], v[4:5], v[14:15]
	v_rcp_f64_e32 v[24:25], v[16:17]
	v_cmp_gt_i32_e32 vcc, s8, v10
	v_cndmask_b32_e32 v12, v36, v10, vcc
	v_lshlrev_b32_e32 v37, 3, v12
	v_fma_f64 v[10:11], -v[16:17], v[24:25], 1.0
	v_fmac_f64_e32 v[24:25], v[24:25], v[10:11]
	v_fma_f64 v[10:11], -v[16:17], v[24:25], 1.0
	v_fmac_f64_e32 v[24:25], v[24:25], v[10:11]
	ds_read2st64_b64 v[10:13], v37 offset1:1
	ds_read_b64 v[28:29], v9
	v_div_scale_f64 v[26:27], vcc, v[14:15], v[4:5], v[14:15]
	v_mul_f64 v[30:31], v[26:27], v[24:25]
	v_fma_f64 v[16:17], -v[16:17], v[30:31], v[26:27]
	s_waitcnt lgkmcnt(0)
	v_div_scale_f64 v[32:33], s[4:5], v[12:13], v[12:13], v[28:29]
	v_rcp_f64_e32 v[34:35], v[32:33]
	v_div_fmas_f64 v[16:17], v[16:17], v[24:25], v[30:31]
	v_div_fixup_f64 v[4:5], v[16:17], v[4:5], v[14:15]
	ds_read_b64 v[26:27], v8
	v_fma_f64 v[14:15], -v[32:33], v[34:35], 1.0
	v_fmac_f64_e32 v[34:35], v[34:35], v[14:15]
	v_fma_f64 v[14:15], -v[32:33], v[34:35], 1.0
	v_fmac_f64_e32 v[34:35], v[34:35], v[14:15]
	v_div_scale_f64 v[14:15], vcc, v[28:29], v[12:13], v[28:29]
	v_mul_f64 v[16:17], v[14:15], v[34:35]
	v_fma_f64 v[14:15], -v[32:33], v[16:17], v[14:15]
	s_waitcnt lgkmcnt(0)
	v_fma_f64 v[6:7], -v[4:5], v[6:7], v[26:27]
	v_div_fmas_f64 v[24:25], v[14:15], v[34:35], v[16:17]
	ds_read2st64_b64 v[14:17], v37 offset0:2 offset1:4
	v_div_fixup_f64 v[12:13], v[24:25], v[12:13], v[28:29]
	v_fma_f64 v[6:7], -v[12:13], v[10:11], v[6:7]
	v_fma_f64 v[10:11], -v[4:5], v[20:21], v[18:19]
	v_mul_f64 v[4:5], v[4:5], -v[22:23]
	s_waitcnt lgkmcnt(0)
	v_fma_f64 v[10:11], -v[12:13], v[16:17], v[10:11]
	v_mul_f64 v[12:13], v[12:13], -v[14:15]
	s_waitcnt lgkmcnt(0)
	; wave barrier
	ds_write_b64 v8, v[6:7]
	ds_write_b64 v1, v[10:11] offset:2048
	ds_write_b64 v1, v[4:5]
	ds_write_b64 v9, v[12:13]
	v_max_u32_e32 v4, 16, v0
	v_lshlrev_b32_e32 v10, 3, v4
	s_waitcnt lgkmcnt(0)
	; wave barrier
	s_waitcnt lgkmcnt(0)
	v_add_u32_e32 v11, 0xffffff80, v10
	ds_read2_b64 v[4:7], v10 offset0:48 offset1:112
	ds_read_b64 v[14:15], v1
	ds_read_b64 v[18:19], v1 offset:2048
	ds_read_b64 v[20:21], v10 offset:1920
	ds_read_b64 v[22:23], v11
	v_add_u32_e32 v10, 16, v0
	s_waitcnt lgkmcnt(3)
	v_div_scale_f64 v[16:17], s[4:5], v[4:5], v[4:5], v[14:15]
	v_rcp_f64_e32 v[24:25], v[16:17]
	v_cmp_gt_i32_e32 vcc, s8, v10
	v_cndmask_b32_e32 v12, v36, v10, vcc
	v_lshlrev_b32_e32 v36, 3, v12
	v_fma_f64 v[10:11], -v[16:17], v[24:25], 1.0
	v_fmac_f64_e32 v[24:25], v[24:25], v[10:11]
	v_fma_f64 v[10:11], -v[16:17], v[24:25], 1.0
	v_fmac_f64_e32 v[24:25], v[24:25], v[10:11]
	ds_read2st64_b64 v[10:13], v36 offset1:1
	ds_read_b64 v[28:29], v9
	v_div_scale_f64 v[26:27], vcc, v[14:15], v[4:5], v[14:15]
	v_mul_f64 v[30:31], v[26:27], v[24:25]
	v_fma_f64 v[16:17], -v[16:17], v[30:31], v[26:27]
	s_waitcnt lgkmcnt(0)
	v_div_scale_f64 v[32:33], s[4:5], v[12:13], v[12:13], v[28:29]
	v_rcp_f64_e32 v[34:35], v[32:33]
	v_div_fmas_f64 v[16:17], v[16:17], v[24:25], v[30:31]
	v_div_fixup_f64 v[4:5], v[16:17], v[4:5], v[14:15]
	ds_read_b64 v[26:27], v8
	v_fma_f64 v[14:15], -v[32:33], v[34:35], 1.0
	v_fmac_f64_e32 v[34:35], v[34:35], v[14:15]
	v_fma_f64 v[14:15], -v[32:33], v[34:35], 1.0
	v_fmac_f64_e32 v[34:35], v[34:35], v[14:15]
	v_div_scale_f64 v[14:15], vcc, v[28:29], v[12:13], v[28:29]
	v_mul_f64 v[16:17], v[14:15], v[34:35]
	v_fma_f64 v[14:15], -v[32:33], v[16:17], v[14:15]
	s_waitcnt lgkmcnt(0)
	v_fma_f64 v[6:7], -v[4:5], v[6:7], v[26:27]
	v_div_fmas_f64 v[24:25], v[14:15], v[34:35], v[16:17]
	ds_read2st64_b64 v[14:17], v36 offset0:2 offset1:4
	v_div_fixup_f64 v[12:13], v[24:25], v[12:13], v[28:29]
	v_fma_f64 v[6:7], -v[12:13], v[10:11], v[6:7]
	v_fma_f64 v[10:11], -v[4:5], v[20:21], v[18:19]
	v_cmp_gt_u32_e32 vcc, 32, v0
	s_waitcnt lgkmcnt(0)
	v_fma_f64 v[10:11], -v[12:13], v[16:17], v[10:11]
	v_mul_f64 v[4:5], v[4:5], -v[22:23]
	v_mul_f64 v[12:13], v[12:13], -v[14:15]
	s_waitcnt lgkmcnt(0)
	; wave barrier
	ds_write_b64 v8, v[6:7]
	ds_write_b64 v1, v[10:11] offset:2048
	ds_write_b64 v1, v[4:5]
	ds_write_b64 v9, v[12:13]
	s_waitcnt lgkmcnt(0)
	; wave barrier
	s_waitcnt lgkmcnt(0)
	s_and_saveexec_b64 s[4:5], vcc
	s_cbranch_execz .LBB34_14
; %bb.9:
	v_or_b32_e32 v6, 32, v0
	v_or_b32_e32 v7, 0x800, v1
	v_cmp_le_i32_e32 vcc, s8, v6
                                        ; implicit-def: $vgpr4_vgpr5
	s_and_saveexec_b64 s[6:7], vcc
	s_xor_b64 s[6:7], exec, s[6:7]
	s_cbranch_execz .LBB34_11
; %bb.10:
	ds_read_b64 v[4:5], v7
	ds_read_b64 v[6:7], v8
	s_waitcnt lgkmcnt(0)
	v_div_scale_f64 v[8:9], s[8:9], v[6:7], v[6:7], v[4:5]
	v_rcp_f64_e32 v[10:11], v[8:9]
	v_div_scale_f64 v[12:13], vcc, v[4:5], v[6:7], v[4:5]
	v_fma_f64 v[14:15], -v[8:9], v[10:11], 1.0
	v_fmac_f64_e32 v[10:11], v[10:11], v[14:15]
	v_fma_f64 v[14:15], -v[8:9], v[10:11], 1.0
	v_fmac_f64_e32 v[10:11], v[10:11], v[14:15]
	v_mul_f64 v[14:15], v[12:13], v[10:11]
	v_fma_f64 v[8:9], -v[8:9], v[14:15], v[12:13]
	v_div_fmas_f64 v[8:9], v[8:9], v[10:11], v[14:15]
	v_div_fixup_f64 v[4:5], v[8:9], v[6:7], v[4:5]
                                        ; implicit-def: $vgpr8
                                        ; implicit-def: $vgpr9
                                        ; implicit-def: $vgpr7
                                        ; implicit-def: $vgpr6
.LBB34_11:
	s_andn2_saveexec_b64 s[6:7], s[6:7]
	s_cbranch_execz .LBB34_13
; %bb.12:
	ds_read_b64 v[4:5], v9
	ds_read_b64 v[16:17], v1 offset:256
	ds_read2_b64 v[8:11], v8 offset1:32
	v_mov_b32_e32 v0, v6
	s_waitcnt lgkmcnt(1)
	v_mul_f64 v[12:13], v[4:5], v[16:17]
	s_waitcnt lgkmcnt(0)
	v_fma_f64 v[18:19], v[10:11], v[8:9], -v[12:13]
	v_div_scale_f64 v[20:21], s[8:9], v[18:19], v[18:19], 1.0
	v_rcp_f64_e32 v[22:23], v[20:21]
	ds_read2_b64 v[12:15], v7 offset1:32
	v_div_scale_f64 v[24:25], vcc, 1.0, v[18:19], 1.0
	v_fma_f64 v[26:27], -v[20:21], v[22:23], 1.0
	v_fmac_f64_e32 v[22:23], v[22:23], v[26:27]
	v_fma_f64 v[26:27], -v[20:21], v[22:23], 1.0
	v_fmac_f64_e32 v[22:23], v[22:23], v[26:27]
	v_mul_f64 v[26:27], v[24:25], v[22:23]
	v_fma_f64 v[20:21], -v[20:21], v[26:27], v[24:25]
	v_div_fmas_f64 v[20:21], v[20:21], v[22:23], v[26:27]
	s_waitcnt lgkmcnt(0)
	v_mul_f64 v[4:5], v[4:5], v[14:15]
	v_div_fixup_f64 v[18:19], v[20:21], v[18:19], 1.0
	v_fma_f64 v[4:5], v[10:11], v[12:13], -v[4:5]
	v_mul_f64 v[4:5], v[18:19], v[4:5]
	ds_write_b64 v1, v[4:5] offset:1536
	v_mul_f64 v[4:5], v[16:17], v[12:13]
	v_fma_f64 v[4:5], v[8:9], v[14:15], -v[4:5]
	v_mul_f64 v[4:5], v[18:19], v[4:5]
.LBB34_13:
	s_or_b64 exec, exec, s[6:7]
	v_lshlrev_b32_e32 v0, 3, v0
	ds_write_b64 v0, v[4:5] offset:1536
.LBB34_14:
	s_or_b64 exec, exec, s[4:5]
	s_waitcnt lgkmcnt(0)
	; wave barrier
	s_waitcnt lgkmcnt(0)
	s_and_saveexec_b64 s[4:5], s[0:1]
	s_cbranch_execz .LBB34_16
; %bb.15:
	ds_read_b64 v[0:1], v1 offset:1536
	v_lshlrev_b64 v[2:3], 3, v[2:3]
	v_mov_b32_e32 v4, s3
	v_add_co_u32_e32 v2, vcc, s2, v2
	v_addc_co_u32_e32 v3, vcc, v4, v3, vcc
	s_waitcnt lgkmcnt(0)
	global_store_dwordx2 v[2:3], v[0:1], off
.LBB34_16:
	s_endpgm
	.section	.rodata,"a",@progbits
	.p2align	6, 0x0
	.amdhsa_kernel _ZN9rocsparseL44gtsv_nopivot_strided_batch_pcr_shared_kernelILj64EdEEviiiPKT0_S3_S3_PS1_
		.amdhsa_group_segment_fixed_size 2560
		.amdhsa_private_segment_fixed_size 0
		.amdhsa_kernarg_size 48
		.amdhsa_user_sgpr_count 6
		.amdhsa_user_sgpr_private_segment_buffer 1
		.amdhsa_user_sgpr_dispatch_ptr 0
		.amdhsa_user_sgpr_queue_ptr 0
		.amdhsa_user_sgpr_kernarg_segment_ptr 1
		.amdhsa_user_sgpr_dispatch_id 0
		.amdhsa_user_sgpr_flat_scratch_init 0
		.amdhsa_user_sgpr_kernarg_preload_length 0
		.amdhsa_user_sgpr_kernarg_preload_offset 0
		.amdhsa_user_sgpr_private_segment_size 0
		.amdhsa_uses_dynamic_stack 0
		.amdhsa_system_sgpr_private_segment_wavefront_offset 0
		.amdhsa_system_sgpr_workgroup_id_x 1
		.amdhsa_system_sgpr_workgroup_id_y 0
		.amdhsa_system_sgpr_workgroup_id_z 0
		.amdhsa_system_sgpr_workgroup_info 0
		.amdhsa_system_vgpr_workitem_id 0
		.amdhsa_next_free_vgpr 38
		.amdhsa_next_free_sgpr 10
		.amdhsa_accum_offset 40
		.amdhsa_reserve_vcc 1
		.amdhsa_reserve_flat_scratch 0
		.amdhsa_float_round_mode_32 0
		.amdhsa_float_round_mode_16_64 0
		.amdhsa_float_denorm_mode_32 3
		.amdhsa_float_denorm_mode_16_64 3
		.amdhsa_dx10_clamp 1
		.amdhsa_ieee_mode 1
		.amdhsa_fp16_overflow 0
		.amdhsa_tg_split 0
		.amdhsa_exception_fp_ieee_invalid_op 0
		.amdhsa_exception_fp_denorm_src 0
		.amdhsa_exception_fp_ieee_div_zero 0
		.amdhsa_exception_fp_ieee_overflow 0
		.amdhsa_exception_fp_ieee_underflow 0
		.amdhsa_exception_fp_ieee_inexact 0
		.amdhsa_exception_int_div_zero 0
	.end_amdhsa_kernel
	.section	.text._ZN9rocsparseL44gtsv_nopivot_strided_batch_pcr_shared_kernelILj64EdEEviiiPKT0_S3_S3_PS1_,"axG",@progbits,_ZN9rocsparseL44gtsv_nopivot_strided_batch_pcr_shared_kernelILj64EdEEviiiPKT0_S3_S3_PS1_,comdat
.Lfunc_end34:
	.size	_ZN9rocsparseL44gtsv_nopivot_strided_batch_pcr_shared_kernelILj64EdEEviiiPKT0_S3_S3_PS1_, .Lfunc_end34-_ZN9rocsparseL44gtsv_nopivot_strided_batch_pcr_shared_kernelILj64EdEEviiiPKT0_S3_S3_PS1_
                                        ; -- End function
	.section	.AMDGPU.csdata,"",@progbits
; Kernel info:
; codeLenInByte = 2588
; NumSgprs: 14
; NumVgprs: 38
; NumAgprs: 0
; TotalNumVgprs: 38
; ScratchSize: 0
; MemoryBound: 0
; FloatMode: 240
; IeeeMode: 1
; LDSByteSize: 2560 bytes/workgroup (compile time only)
; SGPRBlocks: 1
; VGPRBlocks: 4
; NumSGPRsForWavesPerEU: 14
; NumVGPRsForWavesPerEU: 38
; AccumOffset: 40
; Occupancy: 7
; WaveLimiterHint : 0
; COMPUTE_PGM_RSRC2:SCRATCH_EN: 0
; COMPUTE_PGM_RSRC2:USER_SGPR: 6
; COMPUTE_PGM_RSRC2:TRAP_HANDLER: 0
; COMPUTE_PGM_RSRC2:TGID_X_EN: 1
; COMPUTE_PGM_RSRC2:TGID_Y_EN: 0
; COMPUTE_PGM_RSRC2:TGID_Z_EN: 0
; COMPUTE_PGM_RSRC2:TIDIG_COMP_CNT: 0
; COMPUTE_PGM_RSRC3_GFX90A:ACCUM_OFFSET: 9
; COMPUTE_PGM_RSRC3_GFX90A:TG_SPLIT: 0
	.section	.text._ZN9rocsparseL44gtsv_nopivot_strided_batch_pcr_shared_kernelILj128EdEEviiiPKT0_S3_S3_PS1_,"axG",@progbits,_ZN9rocsparseL44gtsv_nopivot_strided_batch_pcr_shared_kernelILj128EdEEviiiPKT0_S3_S3_PS1_,comdat
	.globl	_ZN9rocsparseL44gtsv_nopivot_strided_batch_pcr_shared_kernelILj128EdEEviiiPKT0_S3_S3_PS1_ ; -- Begin function _ZN9rocsparseL44gtsv_nopivot_strided_batch_pcr_shared_kernelILj128EdEEviiiPKT0_S3_S3_PS1_
	.p2align	8
	.type	_ZN9rocsparseL44gtsv_nopivot_strided_batch_pcr_shared_kernelILj128EdEEviiiPKT0_S3_S3_PS1_,@function
_ZN9rocsparseL44gtsv_nopivot_strided_batch_pcr_shared_kernelILj128EdEEviiiPKT0_S3_S3_PS1_: ; @_ZN9rocsparseL44gtsv_nopivot_strided_batch_pcr_shared_kernelILj128EdEEviiiPKT0_S3_S3_PS1_
; %bb.0:
	s_load_dword s0, s[4:5], 0x8
	s_load_dword s8, s[4:5], 0x0
	v_pk_mov_b32 v[4:5], 0, 0
	v_pk_mov_b32 v[6:7], v[4:5], v[4:5] op_sel:[0,1]
	s_waitcnt lgkmcnt(0)
	s_mul_i32 s6, s6, s0
	v_add_u32_e32 v2, s6, v0
	v_cmp_gt_i32_e64 s[0:1], s8, v0
	v_ashrrev_i32_e32 v3, 31, v2
	s_and_saveexec_b64 s[2:3], s[0:1]
	s_cbranch_execz .LBB35_2
; %bb.1:
	s_load_dwordx2 s[6:7], s[4:5], 0x10
	v_lshlrev_b64 v[6:7], 3, v[2:3]
	s_waitcnt lgkmcnt(0)
	v_mov_b32_e32 v1, s7
	v_add_co_u32_e32 v6, vcc, s6, v6
	v_addc_co_u32_e32 v7, vcc, v1, v7, vcc
	global_load_dwordx2 v[6:7], v[6:7], off
.LBB35_2:
	s_or_b64 exec, exec, s[2:3]
	v_lshlrev_b32_e32 v1, 3, v0
	s_waitcnt vmcnt(0)
	ds_write_b64 v1, v[6:7]
	s_and_saveexec_b64 s[2:3], s[0:1]
	s_cbranch_execz .LBB35_4
; %bb.3:
	s_load_dwordx2 s[6:7], s[4:5], 0x18
	v_lshlrev_b64 v[4:5], 3, v[2:3]
	s_waitcnt lgkmcnt(0)
	v_mov_b32_e32 v6, s7
	v_add_co_u32_e32 v4, vcc, s6, v4
	v_addc_co_u32_e32 v5, vcc, v6, v5, vcc
	global_load_dwordx2 v[4:5], v[4:5], off
.LBB35_4:
	s_or_b64 exec, exec, s[2:3]
	s_load_dwordx2 s[2:3], s[4:5], 0x28
	s_waitcnt vmcnt(0)
	ds_write_b64 v1, v[4:5] offset:1024
	v_pk_mov_b32 v[4:5], 0, 0
	v_pk_mov_b32 v[6:7], v[4:5], v[4:5] op_sel:[0,1]
	s_and_saveexec_b64 s[6:7], s[0:1]
	s_cbranch_execz .LBB35_6
; %bb.5:
	s_load_dwordx2 s[4:5], s[4:5], 0x20
	v_lshlrev_b64 v[6:7], 3, v[2:3]
	s_waitcnt lgkmcnt(0)
	v_mov_b32_e32 v8, s5
	v_add_co_u32_e32 v6, vcc, s4, v6
	v_addc_co_u32_e32 v7, vcc, v8, v7, vcc
	global_load_dwordx2 v[6:7], v[6:7], off
.LBB35_6:
	s_or_b64 exec, exec, s[6:7]
	v_or_b32_e32 v8, 0x400, v1
	v_or_b32_e32 v9, 0x800, v1
	s_waitcnt vmcnt(0)
	ds_write_b64 v1, v[6:7] offset:2048
	s_and_saveexec_b64 s[4:5], s[0:1]
	s_cbranch_execz .LBB35_8
; %bb.7:
	v_lshlrev_b64 v[4:5], 3, v[2:3]
	s_waitcnt lgkmcnt(0)
	v_mov_b32_e32 v6, s3
	v_add_co_u32_e32 v4, vcc, s2, v4
	v_addc_co_u32_e32 v5, vcc, v6, v5, vcc
	global_load_dwordx2 v[4:5], v[4:5], off
.LBB35_8:
	s_or_b64 exec, exec, s[4:5]
	s_waitcnt vmcnt(0)
	ds_write_b64 v1, v[4:5] offset:4096
	v_max_u32_e32 v4, 1, v0
	v_lshlrev_b32_e32 v11, 3, v4
	s_waitcnt lgkmcnt(0)
	s_barrier
	v_add_u32_e32 v12, -8, v11
	ds_read2_b64 v[4:7], v11 offset0:127 offset1:255
	ds_read_b64 v[14:15], v1
	ds_read_b64 v[18:19], v1 offset:4096
	ds_read_b64 v[20:21], v11 offset:4088
	ds_read_b64 v[22:23], v12
	s_add_i32 s6, s8, -1
	s_waitcnt lgkmcnt(3)
	v_div_scale_f64 v[16:17], s[4:5], v[4:5], v[4:5], v[14:15]
	v_rcp_f64_e32 v[24:25], v[16:17]
	v_add_u32_e32 v10, 1, v0
	v_mov_b32_e32 v36, s6
	v_cmp_gt_i32_e32 vcc, s8, v10
	v_cndmask_b32_e32 v12, v36, v10, vcc
	v_fma_f64 v[10:11], -v[16:17], v[24:25], 1.0
	v_fmac_f64_e32 v[24:25], v[24:25], v[10:11]
	v_fma_f64 v[10:11], -v[16:17], v[24:25], 1.0
	v_lshlrev_b32_e32 v37, 3, v12
	v_fmac_f64_e32 v[24:25], v[24:25], v[10:11]
	ds_read2st64_b64 v[10:13], v37 offset1:2
	ds_read_b64 v[28:29], v9
	v_div_scale_f64 v[26:27], vcc, v[14:15], v[4:5], v[14:15]
	v_mul_f64 v[30:31], v[26:27], v[24:25]
	v_fma_f64 v[16:17], -v[16:17], v[30:31], v[26:27]
	s_waitcnt lgkmcnt(0)
	v_div_scale_f64 v[32:33], s[4:5], v[12:13], v[12:13], v[28:29]
	v_rcp_f64_e32 v[34:35], v[32:33]
	v_div_fmas_f64 v[16:17], v[16:17], v[24:25], v[30:31]
	v_div_fixup_f64 v[4:5], v[16:17], v[4:5], v[14:15]
	ds_read_b64 v[26:27], v8
	v_fma_f64 v[14:15], -v[32:33], v[34:35], 1.0
	v_fmac_f64_e32 v[34:35], v[34:35], v[14:15]
	v_fma_f64 v[14:15], -v[32:33], v[34:35], 1.0
	v_fmac_f64_e32 v[34:35], v[34:35], v[14:15]
	v_div_scale_f64 v[14:15], vcc, v[28:29], v[12:13], v[28:29]
	v_mul_f64 v[16:17], v[14:15], v[34:35]
	v_fma_f64 v[14:15], -v[32:33], v[16:17], v[14:15]
	s_waitcnt lgkmcnt(0)
	v_fma_f64 v[6:7], -v[4:5], v[6:7], v[26:27]
	v_div_fmas_f64 v[24:25], v[14:15], v[34:35], v[16:17]
	ds_read2st64_b64 v[14:17], v37 offset0:4 offset1:8
	v_div_fixup_f64 v[12:13], v[24:25], v[12:13], v[28:29]
	v_fma_f64 v[6:7], -v[12:13], v[10:11], v[6:7]
	v_fma_f64 v[10:11], -v[4:5], v[20:21], v[18:19]
	v_mul_f64 v[4:5], v[4:5], -v[22:23]
	s_waitcnt lgkmcnt(0)
	v_fma_f64 v[10:11], -v[12:13], v[16:17], v[10:11]
	v_mul_f64 v[12:13], v[12:13], -v[14:15]
	s_barrier
	ds_write_b64 v8, v[6:7]
	ds_write_b64 v1, v[10:11] offset:4096
	ds_write_b64 v1, v[4:5]
	ds_write_b64 v9, v[12:13]
	v_max_u32_e32 v4, 2, v0
	v_lshlrev_b32_e32 v10, 3, v4
	s_waitcnt lgkmcnt(0)
	s_barrier
	v_add_u32_e32 v11, -16, v10
	ds_read2_b64 v[4:7], v10 offset0:126 offset1:254
	ds_read_b64 v[14:15], v1
	ds_read_b64 v[18:19], v1 offset:4096
	ds_read_b64 v[20:21], v10 offset:4080
	ds_read_b64 v[22:23], v11
	v_add_u32_e32 v10, 2, v0
	s_waitcnt lgkmcnt(3)
	v_div_scale_f64 v[16:17], s[4:5], v[4:5], v[4:5], v[14:15]
	v_rcp_f64_e32 v[24:25], v[16:17]
	v_cmp_gt_i32_e32 vcc, s8, v10
	v_cndmask_b32_e32 v12, v36, v10, vcc
	v_lshlrev_b32_e32 v37, 3, v12
	v_fma_f64 v[10:11], -v[16:17], v[24:25], 1.0
	v_fmac_f64_e32 v[24:25], v[24:25], v[10:11]
	v_fma_f64 v[10:11], -v[16:17], v[24:25], 1.0
	v_fmac_f64_e32 v[24:25], v[24:25], v[10:11]
	ds_read2st64_b64 v[10:13], v37 offset1:2
	ds_read_b64 v[28:29], v9
	v_div_scale_f64 v[26:27], vcc, v[14:15], v[4:5], v[14:15]
	v_mul_f64 v[30:31], v[26:27], v[24:25]
	v_fma_f64 v[16:17], -v[16:17], v[30:31], v[26:27]
	s_waitcnt lgkmcnt(0)
	v_div_scale_f64 v[32:33], s[4:5], v[12:13], v[12:13], v[28:29]
	v_rcp_f64_e32 v[34:35], v[32:33]
	v_div_fmas_f64 v[16:17], v[16:17], v[24:25], v[30:31]
	v_div_fixup_f64 v[4:5], v[16:17], v[4:5], v[14:15]
	ds_read_b64 v[26:27], v8
	v_fma_f64 v[14:15], -v[32:33], v[34:35], 1.0
	v_fmac_f64_e32 v[34:35], v[34:35], v[14:15]
	v_fma_f64 v[14:15], -v[32:33], v[34:35], 1.0
	v_fmac_f64_e32 v[34:35], v[34:35], v[14:15]
	v_div_scale_f64 v[14:15], vcc, v[28:29], v[12:13], v[28:29]
	v_mul_f64 v[16:17], v[14:15], v[34:35]
	v_fma_f64 v[14:15], -v[32:33], v[16:17], v[14:15]
	s_waitcnt lgkmcnt(0)
	v_fma_f64 v[6:7], -v[4:5], v[6:7], v[26:27]
	v_div_fmas_f64 v[24:25], v[14:15], v[34:35], v[16:17]
	ds_read2st64_b64 v[14:17], v37 offset0:4 offset1:8
	v_div_fixup_f64 v[12:13], v[24:25], v[12:13], v[28:29]
	v_fma_f64 v[6:7], -v[12:13], v[10:11], v[6:7]
	v_fma_f64 v[10:11], -v[4:5], v[20:21], v[18:19]
	v_mul_f64 v[4:5], v[4:5], -v[22:23]
	s_waitcnt lgkmcnt(0)
	v_fma_f64 v[10:11], -v[12:13], v[16:17], v[10:11]
	v_mul_f64 v[12:13], v[12:13], -v[14:15]
	s_barrier
	ds_write_b64 v8, v[6:7]
	ds_write_b64 v1, v[10:11] offset:4096
	ds_write_b64 v1, v[4:5]
	ds_write_b64 v9, v[12:13]
	v_max_u32_e32 v4, 4, v0
	v_lshlrev_b32_e32 v10, 3, v4
	s_waitcnt lgkmcnt(0)
	s_barrier
	v_subrev_u32_e32 v11, 32, v10
	ds_read2_b64 v[4:7], v10 offset0:124 offset1:252
	ds_read_b64 v[14:15], v1
	ds_read_b64 v[18:19], v1 offset:4096
	ds_read_b64 v[20:21], v10 offset:4064
	ds_read_b64 v[22:23], v11
	v_add_u32_e32 v10, 4, v0
	s_waitcnt lgkmcnt(3)
	v_div_scale_f64 v[16:17], s[4:5], v[4:5], v[4:5], v[14:15]
	v_rcp_f64_e32 v[24:25], v[16:17]
	v_cmp_gt_i32_e32 vcc, s8, v10
	v_cndmask_b32_e32 v12, v36, v10, vcc
	v_lshlrev_b32_e32 v37, 3, v12
	v_fma_f64 v[10:11], -v[16:17], v[24:25], 1.0
	v_fmac_f64_e32 v[24:25], v[24:25], v[10:11]
	v_fma_f64 v[10:11], -v[16:17], v[24:25], 1.0
	v_fmac_f64_e32 v[24:25], v[24:25], v[10:11]
	ds_read2st64_b64 v[10:13], v37 offset1:2
	ds_read_b64 v[28:29], v9
	v_div_scale_f64 v[26:27], vcc, v[14:15], v[4:5], v[14:15]
	v_mul_f64 v[30:31], v[26:27], v[24:25]
	v_fma_f64 v[16:17], -v[16:17], v[30:31], v[26:27]
	s_waitcnt lgkmcnt(0)
	v_div_scale_f64 v[32:33], s[4:5], v[12:13], v[12:13], v[28:29]
	v_rcp_f64_e32 v[34:35], v[32:33]
	v_div_fmas_f64 v[16:17], v[16:17], v[24:25], v[30:31]
	v_div_fixup_f64 v[4:5], v[16:17], v[4:5], v[14:15]
	ds_read_b64 v[26:27], v8
	v_fma_f64 v[14:15], -v[32:33], v[34:35], 1.0
	v_fmac_f64_e32 v[34:35], v[34:35], v[14:15]
	v_fma_f64 v[14:15], -v[32:33], v[34:35], 1.0
	v_fmac_f64_e32 v[34:35], v[34:35], v[14:15]
	v_div_scale_f64 v[14:15], vcc, v[28:29], v[12:13], v[28:29]
	v_mul_f64 v[16:17], v[14:15], v[34:35]
	v_fma_f64 v[14:15], -v[32:33], v[16:17], v[14:15]
	s_waitcnt lgkmcnt(0)
	v_fma_f64 v[6:7], -v[4:5], v[6:7], v[26:27]
	v_div_fmas_f64 v[24:25], v[14:15], v[34:35], v[16:17]
	ds_read2st64_b64 v[14:17], v37 offset0:4 offset1:8
	v_div_fixup_f64 v[12:13], v[24:25], v[12:13], v[28:29]
	v_fma_f64 v[6:7], -v[12:13], v[10:11], v[6:7]
	v_fma_f64 v[10:11], -v[4:5], v[20:21], v[18:19]
	v_mul_f64 v[4:5], v[4:5], -v[22:23]
	s_waitcnt lgkmcnt(0)
	v_fma_f64 v[10:11], -v[12:13], v[16:17], v[10:11]
	v_mul_f64 v[12:13], v[12:13], -v[14:15]
	s_barrier
	ds_write_b64 v8, v[6:7]
	ds_write_b64 v1, v[10:11] offset:4096
	ds_write_b64 v1, v[4:5]
	ds_write_b64 v9, v[12:13]
	v_max_u32_e32 v4, 8, v0
	v_lshlrev_b32_e32 v10, 3, v4
	s_waitcnt lgkmcnt(0)
	s_barrier
	v_subrev_u32_e32 v11, 64, v10
	ds_read2_b64 v[4:7], v10 offset0:120 offset1:248
	ds_read_b64 v[14:15], v1
	ds_read_b64 v[18:19], v1 offset:4096
	ds_read_b64 v[20:21], v10 offset:4032
	ds_read_b64 v[22:23], v11
	v_add_u32_e32 v10, 8, v0
	s_waitcnt lgkmcnt(3)
	v_div_scale_f64 v[16:17], s[4:5], v[4:5], v[4:5], v[14:15]
	v_rcp_f64_e32 v[24:25], v[16:17]
	v_cmp_gt_i32_e32 vcc, s8, v10
	v_cndmask_b32_e32 v12, v36, v10, vcc
	v_lshlrev_b32_e32 v37, 3, v12
	v_fma_f64 v[10:11], -v[16:17], v[24:25], 1.0
	v_fmac_f64_e32 v[24:25], v[24:25], v[10:11]
	v_fma_f64 v[10:11], -v[16:17], v[24:25], 1.0
	v_fmac_f64_e32 v[24:25], v[24:25], v[10:11]
	ds_read2st64_b64 v[10:13], v37 offset1:2
	ds_read_b64 v[28:29], v9
	v_div_scale_f64 v[26:27], vcc, v[14:15], v[4:5], v[14:15]
	v_mul_f64 v[30:31], v[26:27], v[24:25]
	v_fma_f64 v[16:17], -v[16:17], v[30:31], v[26:27]
	s_waitcnt lgkmcnt(0)
	v_div_scale_f64 v[32:33], s[4:5], v[12:13], v[12:13], v[28:29]
	v_rcp_f64_e32 v[34:35], v[32:33]
	v_div_fmas_f64 v[16:17], v[16:17], v[24:25], v[30:31]
	v_div_fixup_f64 v[4:5], v[16:17], v[4:5], v[14:15]
	ds_read_b64 v[26:27], v8
	v_fma_f64 v[14:15], -v[32:33], v[34:35], 1.0
	v_fmac_f64_e32 v[34:35], v[34:35], v[14:15]
	v_fma_f64 v[14:15], -v[32:33], v[34:35], 1.0
	v_fmac_f64_e32 v[34:35], v[34:35], v[14:15]
	v_div_scale_f64 v[14:15], vcc, v[28:29], v[12:13], v[28:29]
	v_mul_f64 v[16:17], v[14:15], v[34:35]
	v_fma_f64 v[14:15], -v[32:33], v[16:17], v[14:15]
	s_waitcnt lgkmcnt(0)
	v_fma_f64 v[6:7], -v[4:5], v[6:7], v[26:27]
	v_div_fmas_f64 v[24:25], v[14:15], v[34:35], v[16:17]
	ds_read2st64_b64 v[14:17], v37 offset0:4 offset1:8
	v_div_fixup_f64 v[12:13], v[24:25], v[12:13], v[28:29]
	v_fma_f64 v[6:7], -v[12:13], v[10:11], v[6:7]
	v_fma_f64 v[10:11], -v[4:5], v[20:21], v[18:19]
	v_mul_f64 v[4:5], v[4:5], -v[22:23]
	s_waitcnt lgkmcnt(0)
	v_fma_f64 v[10:11], -v[12:13], v[16:17], v[10:11]
	v_mul_f64 v[12:13], v[12:13], -v[14:15]
	s_barrier
	ds_write_b64 v8, v[6:7]
	ds_write_b64 v1, v[10:11] offset:4096
	ds_write_b64 v1, v[4:5]
	ds_write_b64 v9, v[12:13]
	v_max_u32_e32 v4, 16, v0
	v_lshlrev_b32_e32 v10, 3, v4
	s_waitcnt lgkmcnt(0)
	s_barrier
	v_add_u32_e32 v11, 0xffffff80, v10
	ds_read2_b64 v[4:7], v10 offset0:112 offset1:240
	ds_read_b64 v[14:15], v1
	ds_read_b64 v[18:19], v1 offset:4096
	ds_read_b64 v[20:21], v10 offset:3968
	ds_read_b64 v[22:23], v11
	v_add_u32_e32 v10, 16, v0
	s_waitcnt lgkmcnt(3)
	v_div_scale_f64 v[16:17], s[4:5], v[4:5], v[4:5], v[14:15]
	v_rcp_f64_e32 v[24:25], v[16:17]
	v_cmp_gt_i32_e32 vcc, s8, v10
	v_cndmask_b32_e32 v12, v36, v10, vcc
	v_lshlrev_b32_e32 v37, 3, v12
	v_fma_f64 v[10:11], -v[16:17], v[24:25], 1.0
	v_fmac_f64_e32 v[24:25], v[24:25], v[10:11]
	v_fma_f64 v[10:11], -v[16:17], v[24:25], 1.0
	v_fmac_f64_e32 v[24:25], v[24:25], v[10:11]
	ds_read2st64_b64 v[10:13], v37 offset1:2
	ds_read_b64 v[28:29], v9
	v_div_scale_f64 v[26:27], vcc, v[14:15], v[4:5], v[14:15]
	v_mul_f64 v[30:31], v[26:27], v[24:25]
	v_fma_f64 v[16:17], -v[16:17], v[30:31], v[26:27]
	s_waitcnt lgkmcnt(0)
	v_div_scale_f64 v[32:33], s[4:5], v[12:13], v[12:13], v[28:29]
	v_rcp_f64_e32 v[34:35], v[32:33]
	v_div_fmas_f64 v[16:17], v[16:17], v[24:25], v[30:31]
	v_div_fixup_f64 v[4:5], v[16:17], v[4:5], v[14:15]
	ds_read_b64 v[26:27], v8
	v_fma_f64 v[14:15], -v[32:33], v[34:35], 1.0
	v_fmac_f64_e32 v[34:35], v[34:35], v[14:15]
	v_fma_f64 v[14:15], -v[32:33], v[34:35], 1.0
	v_fmac_f64_e32 v[34:35], v[34:35], v[14:15]
	v_div_scale_f64 v[14:15], vcc, v[28:29], v[12:13], v[28:29]
	v_mul_f64 v[16:17], v[14:15], v[34:35]
	v_fma_f64 v[14:15], -v[32:33], v[16:17], v[14:15]
	s_waitcnt lgkmcnt(0)
	v_fma_f64 v[6:7], -v[4:5], v[6:7], v[26:27]
	v_div_fmas_f64 v[24:25], v[14:15], v[34:35], v[16:17]
	ds_read2st64_b64 v[14:17], v37 offset0:4 offset1:8
	v_div_fixup_f64 v[12:13], v[24:25], v[12:13], v[28:29]
	v_fma_f64 v[6:7], -v[12:13], v[10:11], v[6:7]
	v_fma_f64 v[10:11], -v[4:5], v[20:21], v[18:19]
	v_mul_f64 v[4:5], v[4:5], -v[22:23]
	s_waitcnt lgkmcnt(0)
	v_fma_f64 v[10:11], -v[12:13], v[16:17], v[10:11]
	v_mul_f64 v[12:13], v[12:13], -v[14:15]
	s_barrier
	ds_write_b64 v8, v[6:7]
	ds_write_b64 v1, v[10:11] offset:4096
	ds_write_b64 v1, v[4:5]
	ds_write_b64 v9, v[12:13]
	v_max_u32_e32 v4, 32, v0
	v_lshlrev_b32_e32 v10, 3, v4
	s_waitcnt lgkmcnt(0)
	s_barrier
	v_add_u32_e32 v11, 0xffffff00, v10
	ds_read2_b64 v[4:7], v10 offset0:96 offset1:224
	ds_read_b64 v[14:15], v1
	ds_read_b64 v[18:19], v1 offset:4096
	ds_read_b64 v[20:21], v10 offset:3840
	ds_read_b64 v[22:23], v11
	v_add_u32_e32 v10, 32, v0
	s_waitcnt lgkmcnt(3)
	v_div_scale_f64 v[16:17], s[4:5], v[4:5], v[4:5], v[14:15]
	v_rcp_f64_e32 v[24:25], v[16:17]
	v_cmp_gt_i32_e32 vcc, s8, v10
	v_cndmask_b32_e32 v12, v36, v10, vcc
	v_lshlrev_b32_e32 v36, 3, v12
	v_fma_f64 v[10:11], -v[16:17], v[24:25], 1.0
	v_fmac_f64_e32 v[24:25], v[24:25], v[10:11]
	v_fma_f64 v[10:11], -v[16:17], v[24:25], 1.0
	v_fmac_f64_e32 v[24:25], v[24:25], v[10:11]
	ds_read2st64_b64 v[10:13], v36 offset1:2
	ds_read_b64 v[28:29], v9
	v_div_scale_f64 v[26:27], vcc, v[14:15], v[4:5], v[14:15]
	v_mul_f64 v[30:31], v[26:27], v[24:25]
	v_fma_f64 v[16:17], -v[16:17], v[30:31], v[26:27]
	s_waitcnt lgkmcnt(0)
	v_div_scale_f64 v[32:33], s[4:5], v[12:13], v[12:13], v[28:29]
	v_rcp_f64_e32 v[34:35], v[32:33]
	v_div_fmas_f64 v[16:17], v[16:17], v[24:25], v[30:31]
	v_div_fixup_f64 v[4:5], v[16:17], v[4:5], v[14:15]
	ds_read_b64 v[26:27], v8
	v_fma_f64 v[14:15], -v[32:33], v[34:35], 1.0
	v_fmac_f64_e32 v[34:35], v[34:35], v[14:15]
	v_fma_f64 v[14:15], -v[32:33], v[34:35], 1.0
	v_fmac_f64_e32 v[34:35], v[34:35], v[14:15]
	v_div_scale_f64 v[14:15], vcc, v[28:29], v[12:13], v[28:29]
	v_mul_f64 v[16:17], v[14:15], v[34:35]
	v_fma_f64 v[14:15], -v[32:33], v[16:17], v[14:15]
	s_waitcnt lgkmcnt(0)
	v_fma_f64 v[6:7], -v[4:5], v[6:7], v[26:27]
	v_div_fmas_f64 v[24:25], v[14:15], v[34:35], v[16:17]
	ds_read2st64_b64 v[14:17], v36 offset0:4 offset1:8
	v_div_fixup_f64 v[12:13], v[24:25], v[12:13], v[28:29]
	v_fma_f64 v[6:7], -v[12:13], v[10:11], v[6:7]
	v_fma_f64 v[10:11], -v[4:5], v[20:21], v[18:19]
	v_cmp_gt_u32_e32 vcc, 64, v0
	s_waitcnt lgkmcnt(0)
	v_fma_f64 v[10:11], -v[12:13], v[16:17], v[10:11]
	v_mul_f64 v[4:5], v[4:5], -v[22:23]
	v_mul_f64 v[12:13], v[12:13], -v[14:15]
	s_barrier
	ds_write_b64 v8, v[6:7]
	ds_write_b64 v1, v[10:11] offset:4096
	ds_write_b64 v1, v[4:5]
	ds_write_b64 v9, v[12:13]
	s_waitcnt lgkmcnt(0)
	s_barrier
	s_and_saveexec_b64 s[4:5], vcc
	s_cbranch_execz .LBB35_14
; %bb.9:
	v_or_b32_e32 v6, 64, v0
	v_or_b32_e32 v7, 0x1000, v1
	v_cmp_le_i32_e32 vcc, s8, v6
                                        ; implicit-def: $vgpr4_vgpr5
	s_and_saveexec_b64 s[6:7], vcc
	s_xor_b64 s[6:7], exec, s[6:7]
	s_cbranch_execz .LBB35_11
; %bb.10:
	ds_read_b64 v[4:5], v7
	ds_read_b64 v[6:7], v8
	s_waitcnt lgkmcnt(0)
	v_div_scale_f64 v[8:9], s[8:9], v[6:7], v[6:7], v[4:5]
	v_rcp_f64_e32 v[10:11], v[8:9]
	v_div_scale_f64 v[12:13], vcc, v[4:5], v[6:7], v[4:5]
	v_fma_f64 v[14:15], -v[8:9], v[10:11], 1.0
	v_fmac_f64_e32 v[10:11], v[10:11], v[14:15]
	v_fma_f64 v[14:15], -v[8:9], v[10:11], 1.0
	v_fmac_f64_e32 v[10:11], v[10:11], v[14:15]
	v_mul_f64 v[14:15], v[12:13], v[10:11]
	v_fma_f64 v[8:9], -v[8:9], v[14:15], v[12:13]
	v_div_fmas_f64 v[8:9], v[8:9], v[10:11], v[14:15]
	v_div_fixup_f64 v[4:5], v[8:9], v[6:7], v[4:5]
                                        ; implicit-def: $vgpr8
                                        ; implicit-def: $vgpr9
                                        ; implicit-def: $vgpr7
                                        ; implicit-def: $vgpr6
.LBB35_11:
	s_andn2_saveexec_b64 s[6:7], s[6:7]
	s_cbranch_execz .LBB35_13
; %bb.12:
	ds_read_b64 v[4:5], v9
	ds_read_b64 v[16:17], v1 offset:512
	ds_read2st64_b64 v[8:11], v8 offset1:1
	v_mov_b32_e32 v0, v6
	s_waitcnt lgkmcnt(1)
	v_mul_f64 v[12:13], v[4:5], v[16:17]
	s_waitcnt lgkmcnt(0)
	v_fma_f64 v[18:19], v[10:11], v[8:9], -v[12:13]
	v_div_scale_f64 v[20:21], s[8:9], v[18:19], v[18:19], 1.0
	v_rcp_f64_e32 v[22:23], v[20:21]
	ds_read2st64_b64 v[12:15], v7 offset1:1
	v_div_scale_f64 v[24:25], vcc, 1.0, v[18:19], 1.0
	v_fma_f64 v[26:27], -v[20:21], v[22:23], 1.0
	v_fmac_f64_e32 v[22:23], v[22:23], v[26:27]
	v_fma_f64 v[26:27], -v[20:21], v[22:23], 1.0
	v_fmac_f64_e32 v[22:23], v[22:23], v[26:27]
	v_mul_f64 v[26:27], v[24:25], v[22:23]
	v_fma_f64 v[20:21], -v[20:21], v[26:27], v[24:25]
	v_div_fmas_f64 v[20:21], v[20:21], v[22:23], v[26:27]
	s_waitcnt lgkmcnt(0)
	v_mul_f64 v[4:5], v[4:5], v[14:15]
	v_div_fixup_f64 v[18:19], v[20:21], v[18:19], 1.0
	v_fma_f64 v[4:5], v[10:11], v[12:13], -v[4:5]
	v_mul_f64 v[4:5], v[18:19], v[4:5]
	ds_write_b64 v1, v[4:5] offset:3072
	v_mul_f64 v[4:5], v[16:17], v[12:13]
	v_fma_f64 v[4:5], v[8:9], v[14:15], -v[4:5]
	v_mul_f64 v[4:5], v[18:19], v[4:5]
.LBB35_13:
	s_or_b64 exec, exec, s[6:7]
	v_lshlrev_b32_e32 v0, 3, v0
	ds_write_b64 v0, v[4:5] offset:3072
.LBB35_14:
	s_or_b64 exec, exec, s[4:5]
	s_waitcnt lgkmcnt(0)
	s_barrier
	s_and_saveexec_b64 s[4:5], s[0:1]
	s_cbranch_execz .LBB35_16
; %bb.15:
	ds_read_b64 v[0:1], v1 offset:3072
	v_lshlrev_b64 v[2:3], 3, v[2:3]
	v_mov_b32_e32 v4, s3
	v_add_co_u32_e32 v2, vcc, s2, v2
	v_addc_co_u32_e32 v3, vcc, v4, v3, vcc
	s_waitcnt lgkmcnt(0)
	global_store_dwordx2 v[2:3], v[0:1], off
.LBB35_16:
	s_endpgm
	.section	.rodata,"a",@progbits
	.p2align	6, 0x0
	.amdhsa_kernel _ZN9rocsparseL44gtsv_nopivot_strided_batch_pcr_shared_kernelILj128EdEEviiiPKT0_S3_S3_PS1_
		.amdhsa_group_segment_fixed_size 5120
		.amdhsa_private_segment_fixed_size 0
		.amdhsa_kernarg_size 48
		.amdhsa_user_sgpr_count 6
		.amdhsa_user_sgpr_private_segment_buffer 1
		.amdhsa_user_sgpr_dispatch_ptr 0
		.amdhsa_user_sgpr_queue_ptr 0
		.amdhsa_user_sgpr_kernarg_segment_ptr 1
		.amdhsa_user_sgpr_dispatch_id 0
		.amdhsa_user_sgpr_flat_scratch_init 0
		.amdhsa_user_sgpr_kernarg_preload_length 0
		.amdhsa_user_sgpr_kernarg_preload_offset 0
		.amdhsa_user_sgpr_private_segment_size 0
		.amdhsa_uses_dynamic_stack 0
		.amdhsa_system_sgpr_private_segment_wavefront_offset 0
		.amdhsa_system_sgpr_workgroup_id_x 1
		.amdhsa_system_sgpr_workgroup_id_y 0
		.amdhsa_system_sgpr_workgroup_id_z 0
		.amdhsa_system_sgpr_workgroup_info 0
		.amdhsa_system_vgpr_workitem_id 0
		.amdhsa_next_free_vgpr 38
		.amdhsa_next_free_sgpr 10
		.amdhsa_accum_offset 40
		.amdhsa_reserve_vcc 1
		.amdhsa_reserve_flat_scratch 0
		.amdhsa_float_round_mode_32 0
		.amdhsa_float_round_mode_16_64 0
		.amdhsa_float_denorm_mode_32 3
		.amdhsa_float_denorm_mode_16_64 3
		.amdhsa_dx10_clamp 1
		.amdhsa_ieee_mode 1
		.amdhsa_fp16_overflow 0
		.amdhsa_tg_split 0
		.amdhsa_exception_fp_ieee_invalid_op 0
		.amdhsa_exception_fp_denorm_src 0
		.amdhsa_exception_fp_ieee_div_zero 0
		.amdhsa_exception_fp_ieee_overflow 0
		.amdhsa_exception_fp_ieee_underflow 0
		.amdhsa_exception_fp_ieee_inexact 0
		.amdhsa_exception_int_div_zero 0
	.end_amdhsa_kernel
	.section	.text._ZN9rocsparseL44gtsv_nopivot_strided_batch_pcr_shared_kernelILj128EdEEviiiPKT0_S3_S3_PS1_,"axG",@progbits,_ZN9rocsparseL44gtsv_nopivot_strided_batch_pcr_shared_kernelILj128EdEEviiiPKT0_S3_S3_PS1_,comdat
.Lfunc_end35:
	.size	_ZN9rocsparseL44gtsv_nopivot_strided_batch_pcr_shared_kernelILj128EdEEviiiPKT0_S3_S3_PS1_, .Lfunc_end35-_ZN9rocsparseL44gtsv_nopivot_strided_batch_pcr_shared_kernelILj128EdEEviiiPKT0_S3_S3_PS1_
                                        ; -- End function
	.section	.AMDGPU.csdata,"",@progbits
; Kernel info:
; codeLenInByte = 2952
; NumSgprs: 14
; NumVgprs: 38
; NumAgprs: 0
; TotalNumVgprs: 38
; ScratchSize: 0
; MemoryBound: 0
; FloatMode: 240
; IeeeMode: 1
; LDSByteSize: 5120 bytes/workgroup (compile time only)
; SGPRBlocks: 1
; VGPRBlocks: 4
; NumSGPRsForWavesPerEU: 14
; NumVGPRsForWavesPerEU: 38
; AccumOffset: 40
; Occupancy: 6
; WaveLimiterHint : 0
; COMPUTE_PGM_RSRC2:SCRATCH_EN: 0
; COMPUTE_PGM_RSRC2:USER_SGPR: 6
; COMPUTE_PGM_RSRC2:TRAP_HANDLER: 0
; COMPUTE_PGM_RSRC2:TGID_X_EN: 1
; COMPUTE_PGM_RSRC2:TGID_Y_EN: 0
; COMPUTE_PGM_RSRC2:TGID_Z_EN: 0
; COMPUTE_PGM_RSRC2:TIDIG_COMP_CNT: 0
; COMPUTE_PGM_RSRC3_GFX90A:ACCUM_OFFSET: 9
; COMPUTE_PGM_RSRC3_GFX90A:TG_SPLIT: 0
	.section	.text._ZN9rocsparseL44gtsv_nopivot_strided_batch_pcr_shared_kernelILj256EdEEviiiPKT0_S3_S3_PS1_,"axG",@progbits,_ZN9rocsparseL44gtsv_nopivot_strided_batch_pcr_shared_kernelILj256EdEEviiiPKT0_S3_S3_PS1_,comdat
	.globl	_ZN9rocsparseL44gtsv_nopivot_strided_batch_pcr_shared_kernelILj256EdEEviiiPKT0_S3_S3_PS1_ ; -- Begin function _ZN9rocsparseL44gtsv_nopivot_strided_batch_pcr_shared_kernelILj256EdEEviiiPKT0_S3_S3_PS1_
	.p2align	8
	.type	_ZN9rocsparseL44gtsv_nopivot_strided_batch_pcr_shared_kernelILj256EdEEviiiPKT0_S3_S3_PS1_,@function
_ZN9rocsparseL44gtsv_nopivot_strided_batch_pcr_shared_kernelILj256EdEEviiiPKT0_S3_S3_PS1_: ; @_ZN9rocsparseL44gtsv_nopivot_strided_batch_pcr_shared_kernelILj256EdEEviiiPKT0_S3_S3_PS1_
; %bb.0:
	s_load_dword s0, s[4:5], 0x8
	s_load_dword s8, s[4:5], 0x0
	v_pk_mov_b32 v[4:5], 0, 0
	v_pk_mov_b32 v[6:7], v[4:5], v[4:5] op_sel:[0,1]
	s_waitcnt lgkmcnt(0)
	s_mul_i32 s6, s6, s0
	v_add_u32_e32 v2, s6, v0
	v_cmp_gt_i32_e64 s[0:1], s8, v0
	v_ashrrev_i32_e32 v3, 31, v2
	s_and_saveexec_b64 s[2:3], s[0:1]
	s_cbranch_execz .LBB36_2
; %bb.1:
	s_load_dwordx2 s[6:7], s[4:5], 0x10
	v_lshlrev_b64 v[6:7], 3, v[2:3]
	s_waitcnt lgkmcnt(0)
	v_mov_b32_e32 v1, s7
	v_add_co_u32_e32 v6, vcc, s6, v6
	v_addc_co_u32_e32 v7, vcc, v1, v7, vcc
	global_load_dwordx2 v[6:7], v[6:7], off
.LBB36_2:
	s_or_b64 exec, exec, s[2:3]
	v_lshlrev_b32_e32 v1, 3, v0
	s_waitcnt vmcnt(0)
	ds_write_b64 v1, v[6:7]
	s_and_saveexec_b64 s[2:3], s[0:1]
	s_cbranch_execz .LBB36_4
; %bb.3:
	s_load_dwordx2 s[6:7], s[4:5], 0x18
	v_lshlrev_b64 v[4:5], 3, v[2:3]
	s_waitcnt lgkmcnt(0)
	v_mov_b32_e32 v6, s7
	v_add_co_u32_e32 v4, vcc, s6, v4
	v_addc_co_u32_e32 v5, vcc, v6, v5, vcc
	global_load_dwordx2 v[4:5], v[4:5], off
.LBB36_4:
	s_or_b64 exec, exec, s[2:3]
	s_load_dwordx2 s[2:3], s[4:5], 0x28
	s_waitcnt vmcnt(0)
	ds_write_b64 v1, v[4:5] offset:2048
	v_pk_mov_b32 v[4:5], 0, 0
	v_pk_mov_b32 v[6:7], v[4:5], v[4:5] op_sel:[0,1]
	s_and_saveexec_b64 s[6:7], s[0:1]
	s_cbranch_execz .LBB36_6
; %bb.5:
	s_load_dwordx2 s[4:5], s[4:5], 0x20
	v_lshlrev_b64 v[6:7], 3, v[2:3]
	s_waitcnt lgkmcnt(0)
	v_mov_b32_e32 v8, s5
	v_add_co_u32_e32 v6, vcc, s4, v6
	v_addc_co_u32_e32 v7, vcc, v8, v7, vcc
	global_load_dwordx2 v[6:7], v[6:7], off
.LBB36_6:
	s_or_b64 exec, exec, s[6:7]
	v_or_b32_e32 v8, 0x800, v1
	v_or_b32_e32 v9, 0x1000, v1
	s_waitcnt vmcnt(0)
	ds_write_b64 v1, v[6:7] offset:4096
	s_and_saveexec_b64 s[4:5], s[0:1]
	s_cbranch_execz .LBB36_8
; %bb.7:
	v_lshlrev_b64 v[4:5], 3, v[2:3]
	s_waitcnt lgkmcnt(0)
	v_mov_b32_e32 v6, s3
	v_add_co_u32_e32 v4, vcc, s2, v4
	v_addc_co_u32_e32 v5, vcc, v6, v5, vcc
	global_load_dwordx2 v[4:5], v[4:5], off
.LBB36_8:
	s_or_b64 exec, exec, s[4:5]
	s_waitcnt vmcnt(0)
	ds_write_b64 v1, v[4:5] offset:8192
	v_max_u32_e32 v4, 1, v0
	v_lshlrev_b32_e32 v4, 3, v4
	v_add_u32_e32 v6, 0x1f8, v4
	s_waitcnt lgkmcnt(0)
	s_barrier
	v_add_u32_e32 v14, -8, v4
	ds_read2st64_b64 v[10:13], v6 offset0:3 offset1:7
	ds_read_b64 v[6:7], v1
	ds_read_b64 v[22:23], v1 offset:8192
	ds_read_b64 v[24:25], v4 offset:8184
	ds_read_b64 v[26:27], v14
	s_add_i32 s6, s8, -1
	s_waitcnt lgkmcnt(3)
	v_div_scale_f64 v[18:19], s[4:5], v[10:11], v[10:11], v[6:7]
	v_rcp_f64_e32 v[20:21], v[18:19]
	v_add_u32_e32 v5, 1, v0
	v_mov_b32_e32 v4, s6
	v_cmp_gt_i32_e32 vcc, s8, v5
	v_fma_f64 v[14:15], -v[18:19], v[20:21], 1.0
	v_cndmask_b32_e32 v5, v4, v5, vcc
	v_fmac_f64_e32 v[20:21], v[20:21], v[14:15]
	v_fma_f64 v[14:15], -v[18:19], v[20:21], 1.0
	v_lshlrev_b32_e32 v5, 3, v5
	v_fmac_f64_e32 v[20:21], v[20:21], v[14:15]
	ds_read2st64_b64 v[14:17], v5 offset1:4
	ds_read_b64 v[30:31], v9
	v_div_scale_f64 v[28:29], vcc, v[6:7], v[10:11], v[6:7]
	v_mul_f64 v[32:33], v[28:29], v[20:21]
	v_fma_f64 v[18:19], -v[18:19], v[32:33], v[28:29]
	s_waitcnt lgkmcnt(0)
	v_div_scale_f64 v[34:35], s[4:5], v[16:17], v[16:17], v[30:31]
	v_rcp_f64_e32 v[36:37], v[34:35]
	v_div_fmas_f64 v[18:19], v[18:19], v[20:21], v[32:33]
	v_div_fixup_f64 v[6:7], v[18:19], v[10:11], v[6:7]
	ds_read_b64 v[28:29], v8
	v_fma_f64 v[10:11], -v[34:35], v[36:37], 1.0
	v_fmac_f64_e32 v[36:37], v[36:37], v[10:11]
	v_fma_f64 v[10:11], -v[34:35], v[36:37], 1.0
	v_fmac_f64_e32 v[36:37], v[36:37], v[10:11]
	v_div_scale_f64 v[10:11], vcc, v[30:31], v[16:17], v[30:31]
	v_mul_f64 v[18:19], v[10:11], v[36:37]
	v_fma_f64 v[10:11], -v[34:35], v[18:19], v[10:11]
	s_waitcnt lgkmcnt(0)
	v_fma_f64 v[12:13], -v[6:7], v[12:13], v[28:29]
	v_div_fmas_f64 v[10:11], v[10:11], v[36:37], v[18:19]
	ds_read2st64_b64 v[18:21], v5 offset0:8 offset1:16
	v_div_fixup_f64 v[10:11], v[10:11], v[16:17], v[30:31]
	v_max_u32_e32 v5, 2, v0
	v_fma_f64 v[12:13], -v[10:11], v[14:15], v[12:13]
	v_fma_f64 v[14:15], -v[6:7], v[24:25], v[22:23]
	v_mul_f64 v[6:7], v[6:7], -v[26:27]
	v_lshlrev_b32_e32 v5, 3, v5
	s_waitcnt lgkmcnt(0)
	v_fma_f64 v[14:15], -v[10:11], v[20:21], v[14:15]
	v_mul_f64 v[10:11], v[10:11], -v[18:19]
	s_barrier
	ds_write_b64 v8, v[12:13]
	ds_write_b64 v1, v[14:15] offset:8192
	ds_write_b64 v1, v[6:7]
	ds_write_b64 v9, v[10:11]
	v_add_u32_e32 v6, 0x1f0, v5
	s_waitcnt lgkmcnt(0)
	s_barrier
	v_add_u32_e32 v14, -16, v5
	ds_read2st64_b64 v[10:13], v6 offset0:3 offset1:7
	ds_read_b64 v[6:7], v1
	ds_read_b64 v[22:23], v1 offset:8192
	ds_read_b64 v[24:25], v5 offset:8176
	ds_read_b64 v[26:27], v14
	v_add_u32_e32 v5, 2, v0
	s_waitcnt lgkmcnt(3)
	v_div_scale_f64 v[18:19], s[4:5], v[10:11], v[10:11], v[6:7]
	v_rcp_f64_e32 v[20:21], v[18:19]
	v_cmp_gt_i32_e32 vcc, s8, v5
	v_cndmask_b32_e32 v5, v4, v5, vcc
	v_lshlrev_b32_e32 v5, 3, v5
	v_fma_f64 v[14:15], -v[18:19], v[20:21], 1.0
	v_fmac_f64_e32 v[20:21], v[20:21], v[14:15]
	v_fma_f64 v[14:15], -v[18:19], v[20:21], 1.0
	v_fmac_f64_e32 v[20:21], v[20:21], v[14:15]
	ds_read2st64_b64 v[14:17], v5 offset1:4
	ds_read_b64 v[30:31], v9
	v_div_scale_f64 v[28:29], vcc, v[6:7], v[10:11], v[6:7]
	v_mul_f64 v[32:33], v[28:29], v[20:21]
	v_fma_f64 v[18:19], -v[18:19], v[32:33], v[28:29]
	s_waitcnt lgkmcnt(0)
	v_div_scale_f64 v[34:35], s[4:5], v[16:17], v[16:17], v[30:31]
	v_rcp_f64_e32 v[36:37], v[34:35]
	v_div_fmas_f64 v[18:19], v[18:19], v[20:21], v[32:33]
	v_div_fixup_f64 v[6:7], v[18:19], v[10:11], v[6:7]
	ds_read_b64 v[28:29], v8
	v_fma_f64 v[10:11], -v[34:35], v[36:37], 1.0
	v_fmac_f64_e32 v[36:37], v[36:37], v[10:11]
	v_fma_f64 v[10:11], -v[34:35], v[36:37], 1.0
	v_fmac_f64_e32 v[36:37], v[36:37], v[10:11]
	v_div_scale_f64 v[10:11], vcc, v[30:31], v[16:17], v[30:31]
	v_mul_f64 v[18:19], v[10:11], v[36:37]
	v_fma_f64 v[10:11], -v[34:35], v[18:19], v[10:11]
	s_waitcnt lgkmcnt(0)
	v_fma_f64 v[12:13], -v[6:7], v[12:13], v[28:29]
	v_div_fmas_f64 v[10:11], v[10:11], v[36:37], v[18:19]
	ds_read2st64_b64 v[18:21], v5 offset0:8 offset1:16
	v_div_fixup_f64 v[10:11], v[10:11], v[16:17], v[30:31]
	v_max_u32_e32 v5, 4, v0
	v_fma_f64 v[12:13], -v[10:11], v[14:15], v[12:13]
	v_fma_f64 v[14:15], -v[6:7], v[24:25], v[22:23]
	v_mul_f64 v[6:7], v[6:7], -v[26:27]
	v_lshlrev_b32_e32 v5, 3, v5
	s_waitcnt lgkmcnt(0)
	v_fma_f64 v[14:15], -v[10:11], v[20:21], v[14:15]
	v_mul_f64 v[10:11], v[10:11], -v[18:19]
	s_barrier
	ds_write_b64 v8, v[12:13]
	ds_write_b64 v1, v[14:15] offset:8192
	ds_write_b64 v1, v[6:7]
	ds_write_b64 v9, v[10:11]
	v_add_u32_e32 v6, 0x1e0, v5
	s_waitcnt lgkmcnt(0)
	s_barrier
	v_subrev_u32_e32 v14, 32, v5
	ds_read2st64_b64 v[10:13], v6 offset0:3 offset1:7
	ds_read_b64 v[6:7], v1
	ds_read_b64 v[22:23], v1 offset:8192
	ds_read_b64 v[24:25], v5 offset:8160
	ds_read_b64 v[26:27], v14
	v_add_u32_e32 v5, 4, v0
	s_waitcnt lgkmcnt(3)
	v_div_scale_f64 v[18:19], s[4:5], v[10:11], v[10:11], v[6:7]
	v_rcp_f64_e32 v[20:21], v[18:19]
	v_cmp_gt_i32_e32 vcc, s8, v5
	v_cndmask_b32_e32 v5, v4, v5, vcc
	v_lshlrev_b32_e32 v5, 3, v5
	v_fma_f64 v[14:15], -v[18:19], v[20:21], 1.0
	v_fmac_f64_e32 v[20:21], v[20:21], v[14:15]
	v_fma_f64 v[14:15], -v[18:19], v[20:21], 1.0
	v_fmac_f64_e32 v[20:21], v[20:21], v[14:15]
	ds_read2st64_b64 v[14:17], v5 offset1:4
	ds_read_b64 v[30:31], v9
	v_div_scale_f64 v[28:29], vcc, v[6:7], v[10:11], v[6:7]
	v_mul_f64 v[32:33], v[28:29], v[20:21]
	v_fma_f64 v[18:19], -v[18:19], v[32:33], v[28:29]
	s_waitcnt lgkmcnt(0)
	v_div_scale_f64 v[34:35], s[4:5], v[16:17], v[16:17], v[30:31]
	v_rcp_f64_e32 v[36:37], v[34:35]
	v_div_fmas_f64 v[18:19], v[18:19], v[20:21], v[32:33]
	v_div_fixup_f64 v[6:7], v[18:19], v[10:11], v[6:7]
	ds_read_b64 v[28:29], v8
	v_fma_f64 v[10:11], -v[34:35], v[36:37], 1.0
	v_fmac_f64_e32 v[36:37], v[36:37], v[10:11]
	v_fma_f64 v[10:11], -v[34:35], v[36:37], 1.0
	v_fmac_f64_e32 v[36:37], v[36:37], v[10:11]
	v_div_scale_f64 v[10:11], vcc, v[30:31], v[16:17], v[30:31]
	v_mul_f64 v[18:19], v[10:11], v[36:37]
	v_fma_f64 v[10:11], -v[34:35], v[18:19], v[10:11]
	s_waitcnt lgkmcnt(0)
	v_fma_f64 v[12:13], -v[6:7], v[12:13], v[28:29]
	v_div_fmas_f64 v[10:11], v[10:11], v[36:37], v[18:19]
	ds_read2st64_b64 v[18:21], v5 offset0:8 offset1:16
	v_div_fixup_f64 v[10:11], v[10:11], v[16:17], v[30:31]
	v_max_u32_e32 v5, 8, v0
	v_fma_f64 v[12:13], -v[10:11], v[14:15], v[12:13]
	v_fma_f64 v[14:15], -v[6:7], v[24:25], v[22:23]
	v_mul_f64 v[6:7], v[6:7], -v[26:27]
	v_lshlrev_b32_e32 v5, 3, v5
	s_waitcnt lgkmcnt(0)
	v_fma_f64 v[14:15], -v[10:11], v[20:21], v[14:15]
	v_mul_f64 v[10:11], v[10:11], -v[18:19]
	s_barrier
	ds_write_b64 v8, v[12:13]
	ds_write_b64 v1, v[14:15] offset:8192
	ds_write_b64 v1, v[6:7]
	ds_write_b64 v9, v[10:11]
	v_add_u32_e32 v6, 0x1c0, v5
	s_waitcnt lgkmcnt(0)
	s_barrier
	v_subrev_u32_e32 v14, 64, v5
	ds_read2st64_b64 v[10:13], v6 offset0:3 offset1:7
	ds_read_b64 v[6:7], v1
	ds_read_b64 v[22:23], v1 offset:8192
	ds_read_b64 v[24:25], v5 offset:8128
	ds_read_b64 v[26:27], v14
	v_add_u32_e32 v5, 8, v0
	s_waitcnt lgkmcnt(3)
	v_div_scale_f64 v[18:19], s[4:5], v[10:11], v[10:11], v[6:7]
	v_rcp_f64_e32 v[20:21], v[18:19]
	v_cmp_gt_i32_e32 vcc, s8, v5
	v_cndmask_b32_e32 v5, v4, v5, vcc
	v_lshlrev_b32_e32 v5, 3, v5
	v_fma_f64 v[14:15], -v[18:19], v[20:21], 1.0
	v_fmac_f64_e32 v[20:21], v[20:21], v[14:15]
	v_fma_f64 v[14:15], -v[18:19], v[20:21], 1.0
	v_fmac_f64_e32 v[20:21], v[20:21], v[14:15]
	ds_read2st64_b64 v[14:17], v5 offset1:4
	ds_read_b64 v[30:31], v9
	v_div_scale_f64 v[28:29], vcc, v[6:7], v[10:11], v[6:7]
	v_mul_f64 v[32:33], v[28:29], v[20:21]
	v_fma_f64 v[18:19], -v[18:19], v[32:33], v[28:29]
	s_waitcnt lgkmcnt(0)
	v_div_scale_f64 v[34:35], s[4:5], v[16:17], v[16:17], v[30:31]
	v_rcp_f64_e32 v[36:37], v[34:35]
	v_div_fmas_f64 v[18:19], v[18:19], v[20:21], v[32:33]
	v_div_fixup_f64 v[6:7], v[18:19], v[10:11], v[6:7]
	ds_read_b64 v[28:29], v8
	v_fma_f64 v[10:11], -v[34:35], v[36:37], 1.0
	v_fmac_f64_e32 v[36:37], v[36:37], v[10:11]
	v_fma_f64 v[10:11], -v[34:35], v[36:37], 1.0
	v_fmac_f64_e32 v[36:37], v[36:37], v[10:11]
	v_div_scale_f64 v[10:11], vcc, v[30:31], v[16:17], v[30:31]
	v_mul_f64 v[18:19], v[10:11], v[36:37]
	v_fma_f64 v[10:11], -v[34:35], v[18:19], v[10:11]
	s_waitcnt lgkmcnt(0)
	v_fma_f64 v[12:13], -v[6:7], v[12:13], v[28:29]
	v_div_fmas_f64 v[10:11], v[10:11], v[36:37], v[18:19]
	ds_read2st64_b64 v[18:21], v5 offset0:8 offset1:16
	v_div_fixup_f64 v[10:11], v[10:11], v[16:17], v[30:31]
	v_max_u32_e32 v5, 16, v0
	v_fma_f64 v[12:13], -v[10:11], v[14:15], v[12:13]
	v_fma_f64 v[14:15], -v[6:7], v[24:25], v[22:23]
	v_mul_f64 v[6:7], v[6:7], -v[26:27]
	v_lshlrev_b32_e32 v5, 3, v5
	s_waitcnt lgkmcnt(0)
	v_fma_f64 v[14:15], -v[10:11], v[20:21], v[14:15]
	v_mul_f64 v[10:11], v[10:11], -v[18:19]
	s_barrier
	ds_write_b64 v8, v[12:13]
	ds_write_b64 v1, v[14:15] offset:8192
	ds_write_b64 v1, v[6:7]
	ds_write_b64 v9, v[10:11]
	v_add_u32_e32 v6, 0x180, v5
	s_waitcnt lgkmcnt(0)
	s_barrier
	v_add_u32_e32 v14, 0xffffff80, v5
	ds_read2st64_b64 v[10:13], v6 offset0:3 offset1:7
	ds_read_b64 v[6:7], v1
	ds_read_b64 v[22:23], v1 offset:8192
	ds_read_b64 v[24:25], v5 offset:8064
	ds_read_b64 v[26:27], v14
	v_add_u32_e32 v5, 16, v0
	s_waitcnt lgkmcnt(3)
	v_div_scale_f64 v[18:19], s[4:5], v[10:11], v[10:11], v[6:7]
	v_rcp_f64_e32 v[20:21], v[18:19]
	v_cmp_gt_i32_e32 vcc, s8, v5
	v_cndmask_b32_e32 v5, v4, v5, vcc
	v_lshlrev_b32_e32 v5, 3, v5
	v_fma_f64 v[14:15], -v[18:19], v[20:21], 1.0
	v_fmac_f64_e32 v[20:21], v[20:21], v[14:15]
	v_fma_f64 v[14:15], -v[18:19], v[20:21], 1.0
	v_fmac_f64_e32 v[20:21], v[20:21], v[14:15]
	ds_read2st64_b64 v[14:17], v5 offset1:4
	ds_read_b64 v[30:31], v9
	v_div_scale_f64 v[28:29], vcc, v[6:7], v[10:11], v[6:7]
	v_mul_f64 v[32:33], v[28:29], v[20:21]
	v_fma_f64 v[18:19], -v[18:19], v[32:33], v[28:29]
	s_waitcnt lgkmcnt(0)
	v_div_scale_f64 v[34:35], s[4:5], v[16:17], v[16:17], v[30:31]
	v_rcp_f64_e32 v[36:37], v[34:35]
	v_div_fmas_f64 v[18:19], v[18:19], v[20:21], v[32:33]
	v_div_fixup_f64 v[6:7], v[18:19], v[10:11], v[6:7]
	ds_read_b64 v[28:29], v8
	v_fma_f64 v[10:11], -v[34:35], v[36:37], 1.0
	v_fmac_f64_e32 v[36:37], v[36:37], v[10:11]
	v_fma_f64 v[10:11], -v[34:35], v[36:37], 1.0
	v_fmac_f64_e32 v[36:37], v[36:37], v[10:11]
	v_div_scale_f64 v[10:11], vcc, v[30:31], v[16:17], v[30:31]
	v_mul_f64 v[18:19], v[10:11], v[36:37]
	v_fma_f64 v[10:11], -v[34:35], v[18:19], v[10:11]
	s_waitcnt lgkmcnt(0)
	v_fma_f64 v[12:13], -v[6:7], v[12:13], v[28:29]
	v_div_fmas_f64 v[10:11], v[10:11], v[36:37], v[18:19]
	ds_read2st64_b64 v[18:21], v5 offset0:8 offset1:16
	v_div_fixup_f64 v[10:11], v[10:11], v[16:17], v[30:31]
	v_max_u32_e32 v5, 32, v0
	v_fma_f64 v[12:13], -v[10:11], v[14:15], v[12:13]
	v_fma_f64 v[14:15], -v[6:7], v[24:25], v[22:23]
	v_mul_f64 v[6:7], v[6:7], -v[26:27]
	v_lshlrev_b32_e32 v5, 3, v5
	s_waitcnt lgkmcnt(0)
	v_fma_f64 v[14:15], -v[10:11], v[20:21], v[14:15]
	v_mul_f64 v[10:11], v[10:11], -v[18:19]
	s_barrier
	ds_write_b64 v8, v[12:13]
	ds_write_b64 v1, v[14:15] offset:8192
	ds_write_b64 v1, v[6:7]
	ds_write_b64 v9, v[10:11]
	v_add_u32_e32 v6, 0x100, v5
	s_waitcnt lgkmcnt(0)
	s_barrier
	v_add_u32_e32 v14, 0xffffff00, v5
	ds_read2st64_b64 v[10:13], v6 offset0:3 offset1:7
	ds_read_b64 v[6:7], v1
	ds_read_b64 v[22:23], v1 offset:8192
	ds_read_b64 v[24:25], v5 offset:7936
	ds_read_b64 v[26:27], v14
	v_add_u32_e32 v5, 32, v0
	s_waitcnt lgkmcnt(3)
	v_div_scale_f64 v[18:19], s[4:5], v[10:11], v[10:11], v[6:7]
	v_rcp_f64_e32 v[20:21], v[18:19]
	v_cmp_gt_i32_e32 vcc, s8, v5
	v_cndmask_b32_e32 v5, v4, v5, vcc
	v_lshlrev_b32_e32 v5, 3, v5
	v_fma_f64 v[14:15], -v[18:19], v[20:21], 1.0
	v_fmac_f64_e32 v[20:21], v[20:21], v[14:15]
	v_fma_f64 v[14:15], -v[18:19], v[20:21], 1.0
	v_fmac_f64_e32 v[20:21], v[20:21], v[14:15]
	ds_read2st64_b64 v[14:17], v5 offset1:4
	ds_read_b64 v[30:31], v9
	v_div_scale_f64 v[28:29], vcc, v[6:7], v[10:11], v[6:7]
	v_mul_f64 v[32:33], v[28:29], v[20:21]
	v_fma_f64 v[18:19], -v[18:19], v[32:33], v[28:29]
	s_waitcnt lgkmcnt(0)
	v_div_scale_f64 v[34:35], s[4:5], v[16:17], v[16:17], v[30:31]
	v_rcp_f64_e32 v[36:37], v[34:35]
	v_div_fmas_f64 v[18:19], v[18:19], v[20:21], v[32:33]
	v_div_fixup_f64 v[6:7], v[18:19], v[10:11], v[6:7]
	ds_read_b64 v[28:29], v8
	v_fma_f64 v[10:11], -v[34:35], v[36:37], 1.0
	v_fmac_f64_e32 v[36:37], v[36:37], v[10:11]
	v_fma_f64 v[10:11], -v[34:35], v[36:37], 1.0
	v_fmac_f64_e32 v[36:37], v[36:37], v[10:11]
	v_div_scale_f64 v[10:11], vcc, v[30:31], v[16:17], v[30:31]
	v_mul_f64 v[18:19], v[10:11], v[36:37]
	v_fma_f64 v[10:11], -v[34:35], v[18:19], v[10:11]
	s_waitcnt lgkmcnt(0)
	v_fma_f64 v[12:13], -v[6:7], v[12:13], v[28:29]
	v_div_fmas_f64 v[10:11], v[10:11], v[36:37], v[18:19]
	ds_read2st64_b64 v[18:21], v5 offset0:8 offset1:16
	v_div_fixup_f64 v[10:11], v[10:11], v[16:17], v[30:31]
	v_fma_f64 v[12:13], -v[10:11], v[14:15], v[12:13]
	v_fma_f64 v[14:15], -v[6:7], v[24:25], v[22:23]
	v_max_u32_e32 v5, 64, v0
	s_waitcnt lgkmcnt(0)
	v_fma_f64 v[14:15], -v[10:11], v[20:21], v[14:15]
	v_mul_f64 v[6:7], v[6:7], -v[26:27]
	v_mul_f64 v[10:11], v[10:11], -v[18:19]
	v_lshlrev_b32_e32 v5, 3, v5
	s_barrier
	ds_write_b64 v8, v[12:13]
	ds_write_b64 v1, v[14:15] offset:8192
	ds_write_b64 v1, v[6:7]
	ds_write_b64 v9, v[10:11]
	s_waitcnt lgkmcnt(0)
	s_barrier
	v_add_u32_e32 v6, 0xfffffe00, v5
	ds_read2st64_b64 v[10:13], v5 offset0:3 offset1:7
	ds_read_b64 v[14:15], v1
	ds_read_b64 v[18:19], v1 offset:8192
	ds_read_b64 v[20:21], v5 offset:7680
	ds_read_b64 v[22:23], v6
	v_add_u32_e32 v5, 64, v0
	s_waitcnt lgkmcnt(3)
	v_div_scale_f64 v[16:17], s[4:5], v[10:11], v[10:11], v[14:15]
	v_rcp_f64_e32 v[24:25], v[16:17]
	v_cmp_gt_i32_e32 vcc, s8, v5
	v_cndmask_b32_e32 v6, v4, v5, vcc
	v_lshlrev_b32_e32 v36, 3, v6
	v_fma_f64 v[4:5], -v[16:17], v[24:25], 1.0
	v_fmac_f64_e32 v[24:25], v[24:25], v[4:5]
	v_fma_f64 v[4:5], -v[16:17], v[24:25], 1.0
	v_fmac_f64_e32 v[24:25], v[24:25], v[4:5]
	ds_read2st64_b64 v[4:7], v36 offset1:4
	ds_read_b64 v[28:29], v9
	v_div_scale_f64 v[26:27], vcc, v[14:15], v[10:11], v[14:15]
	v_mul_f64 v[30:31], v[26:27], v[24:25]
	v_fma_f64 v[16:17], -v[16:17], v[30:31], v[26:27]
	s_waitcnt lgkmcnt(0)
	v_div_scale_f64 v[32:33], s[4:5], v[6:7], v[6:7], v[28:29]
	v_rcp_f64_e32 v[34:35], v[32:33]
	v_div_fmas_f64 v[16:17], v[16:17], v[24:25], v[30:31]
	v_div_fixup_f64 v[10:11], v[16:17], v[10:11], v[14:15]
	ds_read_b64 v[26:27], v8
	v_fma_f64 v[14:15], -v[32:33], v[34:35], 1.0
	v_fmac_f64_e32 v[34:35], v[34:35], v[14:15]
	v_fma_f64 v[14:15], -v[32:33], v[34:35], 1.0
	v_fmac_f64_e32 v[34:35], v[34:35], v[14:15]
	v_div_scale_f64 v[14:15], vcc, v[28:29], v[6:7], v[28:29]
	v_mul_f64 v[16:17], v[14:15], v[34:35]
	v_fma_f64 v[14:15], -v[32:33], v[16:17], v[14:15]
	s_waitcnt lgkmcnt(0)
	v_fma_f64 v[12:13], -v[10:11], v[12:13], v[26:27]
	v_div_fmas_f64 v[24:25], v[14:15], v[34:35], v[16:17]
	ds_read2st64_b64 v[14:17], v36 offset0:8 offset1:16
	v_div_fixup_f64 v[6:7], v[24:25], v[6:7], v[28:29]
	s_movk_i32 s4, 0x80
	v_fma_f64 v[4:5], -v[6:7], v[4:5], v[12:13]
	v_fma_f64 v[12:13], -v[10:11], v[20:21], v[18:19]
	v_cmp_gt_u32_e32 vcc, s4, v0
	s_waitcnt lgkmcnt(0)
	v_fma_f64 v[12:13], -v[6:7], v[16:17], v[12:13]
	v_mul_f64 v[10:11], v[10:11], -v[22:23]
	v_mul_f64 v[6:7], v[6:7], -v[14:15]
	s_barrier
	ds_write_b64 v8, v[4:5]
	ds_write_b64 v1, v[12:13] offset:8192
	ds_write_b64 v1, v[10:11]
	ds_write_b64 v9, v[6:7]
	s_waitcnt lgkmcnt(0)
	s_barrier
	s_and_saveexec_b64 s[4:5], vcc
	s_cbranch_execz .LBB36_14
; %bb.9:
	v_or_b32_e32 v6, 0x80, v0
	v_or_b32_e32 v7, 0x2000, v1
	v_cmp_le_i32_e32 vcc, s8, v6
                                        ; implicit-def: $vgpr4_vgpr5
	s_and_saveexec_b64 s[6:7], vcc
	s_xor_b64 s[6:7], exec, s[6:7]
	s_cbranch_execz .LBB36_11
; %bb.10:
	ds_read_b64 v[4:5], v7
	ds_read_b64 v[6:7], v8
	s_waitcnt lgkmcnt(0)
	v_div_scale_f64 v[8:9], s[8:9], v[6:7], v[6:7], v[4:5]
	v_rcp_f64_e32 v[10:11], v[8:9]
	v_div_scale_f64 v[12:13], vcc, v[4:5], v[6:7], v[4:5]
	v_fma_f64 v[14:15], -v[8:9], v[10:11], 1.0
	v_fmac_f64_e32 v[10:11], v[10:11], v[14:15]
	v_fma_f64 v[14:15], -v[8:9], v[10:11], 1.0
	v_fmac_f64_e32 v[10:11], v[10:11], v[14:15]
	v_mul_f64 v[14:15], v[12:13], v[10:11]
	v_fma_f64 v[8:9], -v[8:9], v[14:15], v[12:13]
	v_div_fmas_f64 v[8:9], v[8:9], v[10:11], v[14:15]
	v_div_fixup_f64 v[4:5], v[8:9], v[6:7], v[4:5]
                                        ; implicit-def: $vgpr8
                                        ; implicit-def: $vgpr9
                                        ; implicit-def: $vgpr7
                                        ; implicit-def: $vgpr6
.LBB36_11:
	s_andn2_saveexec_b64 s[6:7], s[6:7]
	s_cbranch_execz .LBB36_13
; %bb.12:
	ds_read_b64 v[4:5], v9
	ds_read_b64 v[16:17], v1 offset:1024
	ds_read2st64_b64 v[8:11], v8 offset1:2
	v_mov_b32_e32 v0, v6
	s_waitcnt lgkmcnt(1)
	v_mul_f64 v[12:13], v[4:5], v[16:17]
	s_waitcnt lgkmcnt(0)
	v_fma_f64 v[18:19], v[10:11], v[8:9], -v[12:13]
	v_div_scale_f64 v[20:21], s[8:9], v[18:19], v[18:19], 1.0
	v_rcp_f64_e32 v[22:23], v[20:21]
	ds_read2st64_b64 v[12:15], v7 offset1:2
	v_div_scale_f64 v[24:25], vcc, 1.0, v[18:19], 1.0
	v_fma_f64 v[26:27], -v[20:21], v[22:23], 1.0
	v_fmac_f64_e32 v[22:23], v[22:23], v[26:27]
	v_fma_f64 v[26:27], -v[20:21], v[22:23], 1.0
	v_fmac_f64_e32 v[22:23], v[22:23], v[26:27]
	v_mul_f64 v[26:27], v[24:25], v[22:23]
	v_fma_f64 v[20:21], -v[20:21], v[26:27], v[24:25]
	v_div_fmas_f64 v[20:21], v[20:21], v[22:23], v[26:27]
	s_waitcnt lgkmcnt(0)
	v_mul_f64 v[4:5], v[4:5], v[14:15]
	v_div_fixup_f64 v[18:19], v[20:21], v[18:19], 1.0
	v_fma_f64 v[4:5], v[10:11], v[12:13], -v[4:5]
	v_mul_f64 v[4:5], v[18:19], v[4:5]
	ds_write_b64 v1, v[4:5] offset:6144
	v_mul_f64 v[4:5], v[16:17], v[12:13]
	v_fma_f64 v[4:5], v[8:9], v[14:15], -v[4:5]
	v_mul_f64 v[4:5], v[18:19], v[4:5]
.LBB36_13:
	s_or_b64 exec, exec, s[6:7]
	v_lshlrev_b32_e32 v0, 3, v0
	ds_write_b64 v0, v[4:5] offset:6144
.LBB36_14:
	s_or_b64 exec, exec, s[4:5]
	s_waitcnt lgkmcnt(0)
	s_barrier
	s_and_saveexec_b64 s[4:5], s[0:1]
	s_cbranch_execz .LBB36_16
; %bb.15:
	ds_read_b64 v[0:1], v1 offset:6144
	v_lshlrev_b64 v[2:3], 3, v[2:3]
	v_mov_b32_e32 v4, s3
	v_add_co_u32_e32 v2, vcc, s2, v2
	v_addc_co_u32_e32 v3, vcc, v4, v3, vcc
	s_waitcnt lgkmcnt(0)
	global_store_dwordx2 v[2:3], v[0:1], off
.LBB36_16:
	s_endpgm
	.section	.rodata,"a",@progbits
	.p2align	6, 0x0
	.amdhsa_kernel _ZN9rocsparseL44gtsv_nopivot_strided_batch_pcr_shared_kernelILj256EdEEviiiPKT0_S3_S3_PS1_
		.amdhsa_group_segment_fixed_size 10240
		.amdhsa_private_segment_fixed_size 0
		.amdhsa_kernarg_size 48
		.amdhsa_user_sgpr_count 6
		.amdhsa_user_sgpr_private_segment_buffer 1
		.amdhsa_user_sgpr_dispatch_ptr 0
		.amdhsa_user_sgpr_queue_ptr 0
		.amdhsa_user_sgpr_kernarg_segment_ptr 1
		.amdhsa_user_sgpr_dispatch_id 0
		.amdhsa_user_sgpr_flat_scratch_init 0
		.amdhsa_user_sgpr_kernarg_preload_length 0
		.amdhsa_user_sgpr_kernarg_preload_offset 0
		.amdhsa_user_sgpr_private_segment_size 0
		.amdhsa_uses_dynamic_stack 0
		.amdhsa_system_sgpr_private_segment_wavefront_offset 0
		.amdhsa_system_sgpr_workgroup_id_x 1
		.amdhsa_system_sgpr_workgroup_id_y 0
		.amdhsa_system_sgpr_workgroup_id_z 0
		.amdhsa_system_sgpr_workgroup_info 0
		.amdhsa_system_vgpr_workitem_id 0
		.amdhsa_next_free_vgpr 38
		.amdhsa_next_free_sgpr 10
		.amdhsa_accum_offset 40
		.amdhsa_reserve_vcc 1
		.amdhsa_reserve_flat_scratch 0
		.amdhsa_float_round_mode_32 0
		.amdhsa_float_round_mode_16_64 0
		.amdhsa_float_denorm_mode_32 3
		.amdhsa_float_denorm_mode_16_64 3
		.amdhsa_dx10_clamp 1
		.amdhsa_ieee_mode 1
		.amdhsa_fp16_overflow 0
		.amdhsa_tg_split 0
		.amdhsa_exception_fp_ieee_invalid_op 0
		.amdhsa_exception_fp_denorm_src 0
		.amdhsa_exception_fp_ieee_div_zero 0
		.amdhsa_exception_fp_ieee_overflow 0
		.amdhsa_exception_fp_ieee_underflow 0
		.amdhsa_exception_fp_ieee_inexact 0
		.amdhsa_exception_int_div_zero 0
	.end_amdhsa_kernel
	.section	.text._ZN9rocsparseL44gtsv_nopivot_strided_batch_pcr_shared_kernelILj256EdEEviiiPKT0_S3_S3_PS1_,"axG",@progbits,_ZN9rocsparseL44gtsv_nopivot_strided_batch_pcr_shared_kernelILj256EdEEviiiPKT0_S3_S3_PS1_,comdat
.Lfunc_end36:
	.size	_ZN9rocsparseL44gtsv_nopivot_strided_batch_pcr_shared_kernelILj256EdEEviiiPKT0_S3_S3_PS1_, .Lfunc_end36-_ZN9rocsparseL44gtsv_nopivot_strided_batch_pcr_shared_kernelILj256EdEEviiiPKT0_S3_S3_PS1_
                                        ; -- End function
	.section	.AMDGPU.csdata,"",@progbits
; Kernel info:
; codeLenInByte = 3372
; NumSgprs: 14
; NumVgprs: 38
; NumAgprs: 0
; TotalNumVgprs: 38
; ScratchSize: 0
; MemoryBound: 0
; FloatMode: 240
; IeeeMode: 1
; LDSByteSize: 10240 bytes/workgroup (compile time only)
; SGPRBlocks: 1
; VGPRBlocks: 4
; NumSGPRsForWavesPerEU: 14
; NumVGPRsForWavesPerEU: 38
; AccumOffset: 40
; Occupancy: 6
; WaveLimiterHint : 0
; COMPUTE_PGM_RSRC2:SCRATCH_EN: 0
; COMPUTE_PGM_RSRC2:USER_SGPR: 6
; COMPUTE_PGM_RSRC2:TRAP_HANDLER: 0
; COMPUTE_PGM_RSRC2:TGID_X_EN: 1
; COMPUTE_PGM_RSRC2:TGID_Y_EN: 0
; COMPUTE_PGM_RSRC2:TGID_Z_EN: 0
; COMPUTE_PGM_RSRC2:TIDIG_COMP_CNT: 0
; COMPUTE_PGM_RSRC3_GFX90A:ACCUM_OFFSET: 9
; COMPUTE_PGM_RSRC3_GFX90A:TG_SPLIT: 0
	.section	.text._ZN9rocsparseL44gtsv_nopivot_strided_batch_pcr_shared_kernelILj512EdEEviiiPKT0_S3_S3_PS1_,"axG",@progbits,_ZN9rocsparseL44gtsv_nopivot_strided_batch_pcr_shared_kernelILj512EdEEviiiPKT0_S3_S3_PS1_,comdat
	.globl	_ZN9rocsparseL44gtsv_nopivot_strided_batch_pcr_shared_kernelILj512EdEEviiiPKT0_S3_S3_PS1_ ; -- Begin function _ZN9rocsparseL44gtsv_nopivot_strided_batch_pcr_shared_kernelILj512EdEEviiiPKT0_S3_S3_PS1_
	.p2align	8
	.type	_ZN9rocsparseL44gtsv_nopivot_strided_batch_pcr_shared_kernelILj512EdEEviiiPKT0_S3_S3_PS1_,@function
_ZN9rocsparseL44gtsv_nopivot_strided_batch_pcr_shared_kernelILj512EdEEviiiPKT0_S3_S3_PS1_: ; @_ZN9rocsparseL44gtsv_nopivot_strided_batch_pcr_shared_kernelILj512EdEEviiiPKT0_S3_S3_PS1_
; %bb.0:
	s_load_dword s0, s[4:5], 0x8
	s_load_dword s8, s[4:5], 0x0
	v_pk_mov_b32 v[4:5], 0, 0
	v_pk_mov_b32 v[6:7], v[4:5], v[4:5] op_sel:[0,1]
	s_waitcnt lgkmcnt(0)
	s_mul_i32 s6, s6, s0
	v_add_u32_e32 v2, s6, v0
	v_cmp_gt_i32_e64 s[0:1], s8, v0
	v_ashrrev_i32_e32 v3, 31, v2
	s_and_saveexec_b64 s[2:3], s[0:1]
	s_cbranch_execz .LBB37_2
; %bb.1:
	s_load_dwordx2 s[6:7], s[4:5], 0x10
	v_lshlrev_b64 v[6:7], 3, v[2:3]
	s_waitcnt lgkmcnt(0)
	v_mov_b32_e32 v1, s7
	v_add_co_u32_e32 v6, vcc, s6, v6
	v_addc_co_u32_e32 v7, vcc, v1, v7, vcc
	global_load_dwordx2 v[6:7], v[6:7], off
.LBB37_2:
	s_or_b64 exec, exec, s[2:3]
	v_lshlrev_b32_e32 v1, 3, v0
	s_waitcnt vmcnt(0)
	ds_write_b64 v1, v[6:7]
	s_and_saveexec_b64 s[2:3], s[0:1]
	s_cbranch_execz .LBB37_4
; %bb.3:
	s_load_dwordx2 s[6:7], s[4:5], 0x18
	v_lshlrev_b64 v[4:5], 3, v[2:3]
	s_waitcnt lgkmcnt(0)
	v_mov_b32_e32 v6, s7
	v_add_co_u32_e32 v4, vcc, s6, v4
	v_addc_co_u32_e32 v5, vcc, v6, v5, vcc
	global_load_dwordx2 v[4:5], v[4:5], off
.LBB37_4:
	s_or_b64 exec, exec, s[2:3]
	s_load_dwordx2 s[2:3], s[4:5], 0x28
	s_waitcnt vmcnt(0)
	ds_write_b64 v1, v[4:5] offset:4096
	v_pk_mov_b32 v[4:5], 0, 0
	v_pk_mov_b32 v[6:7], v[4:5], v[4:5] op_sel:[0,1]
	s_and_saveexec_b64 s[6:7], s[0:1]
	s_cbranch_execz .LBB37_6
; %bb.5:
	s_load_dwordx2 s[4:5], s[4:5], 0x20
	v_lshlrev_b64 v[6:7], 3, v[2:3]
	s_waitcnt lgkmcnt(0)
	v_mov_b32_e32 v8, s5
	v_add_co_u32_e32 v6, vcc, s4, v6
	v_addc_co_u32_e32 v7, vcc, v8, v7, vcc
	global_load_dwordx2 v[6:7], v[6:7], off
.LBB37_6:
	s_or_b64 exec, exec, s[6:7]
	v_or_b32_e32 v8, 0x1000, v1
	v_or_b32_e32 v9, 0x2000, v1
	s_waitcnt vmcnt(0)
	ds_write_b64 v1, v[6:7] offset:8192
	s_and_saveexec_b64 s[4:5], s[0:1]
	s_cbranch_execz .LBB37_8
; %bb.7:
	v_lshlrev_b64 v[4:5], 3, v[2:3]
	s_waitcnt lgkmcnt(0)
	v_mov_b32_e32 v6, s3
	v_add_co_u32_e32 v4, vcc, s2, v4
	v_addc_co_u32_e32 v5, vcc, v6, v5, vcc
	global_load_dwordx2 v[4:5], v[4:5], off
.LBB37_8:
	s_or_b64 exec, exec, s[4:5]
	s_waitcnt vmcnt(0)
	ds_write_b64 v1, v[4:5] offset:16384
	v_max_u32_e32 v4, 1, v0
	v_lshlrev_b32_e32 v4, 3, v4
	v_add_u32_e32 v6, 0x1f8, v4
	s_waitcnt lgkmcnt(0)
	s_barrier
	v_add_u32_e32 v14, -8, v4
	ds_read2st64_b64 v[10:13], v6 offset0:7 offset1:15
	ds_read_b64 v[6:7], v1
	ds_read_b64 v[22:23], v1 offset:16384
	ds_read_b64 v[24:25], v4 offset:16376
	ds_read_b64 v[26:27], v14
	s_add_i32 s6, s8, -1
	s_waitcnt lgkmcnt(3)
	v_div_scale_f64 v[18:19], s[4:5], v[10:11], v[10:11], v[6:7]
	v_rcp_f64_e32 v[20:21], v[18:19]
	v_add_u32_e32 v5, 1, v0
	v_mov_b32_e32 v4, s6
	v_cmp_gt_i32_e32 vcc, s8, v5
	v_fma_f64 v[14:15], -v[18:19], v[20:21], 1.0
	v_cndmask_b32_e32 v5, v4, v5, vcc
	v_fmac_f64_e32 v[20:21], v[20:21], v[14:15]
	v_fma_f64 v[14:15], -v[18:19], v[20:21], 1.0
	v_lshlrev_b32_e32 v5, 3, v5
	v_fmac_f64_e32 v[20:21], v[20:21], v[14:15]
	ds_read2st64_b64 v[14:17], v5 offset1:8
	ds_read_b64 v[30:31], v9
	v_div_scale_f64 v[28:29], vcc, v[6:7], v[10:11], v[6:7]
	v_mul_f64 v[32:33], v[28:29], v[20:21]
	v_fma_f64 v[18:19], -v[18:19], v[32:33], v[28:29]
	s_waitcnt lgkmcnt(0)
	v_div_scale_f64 v[34:35], s[4:5], v[16:17], v[16:17], v[30:31]
	v_rcp_f64_e32 v[36:37], v[34:35]
	v_div_fmas_f64 v[18:19], v[18:19], v[20:21], v[32:33]
	v_div_fixup_f64 v[6:7], v[18:19], v[10:11], v[6:7]
	ds_read_b64 v[28:29], v8
	v_fma_f64 v[10:11], -v[34:35], v[36:37], 1.0
	v_fmac_f64_e32 v[36:37], v[36:37], v[10:11]
	v_fma_f64 v[10:11], -v[34:35], v[36:37], 1.0
	v_fmac_f64_e32 v[36:37], v[36:37], v[10:11]
	v_div_scale_f64 v[10:11], vcc, v[30:31], v[16:17], v[30:31]
	v_mul_f64 v[18:19], v[10:11], v[36:37]
	v_fma_f64 v[10:11], -v[34:35], v[18:19], v[10:11]
	s_waitcnt lgkmcnt(0)
	v_fma_f64 v[12:13], -v[6:7], v[12:13], v[28:29]
	v_div_fmas_f64 v[10:11], v[10:11], v[36:37], v[18:19]
	ds_read2st64_b64 v[18:21], v5 offset0:16 offset1:32
	v_div_fixup_f64 v[10:11], v[10:11], v[16:17], v[30:31]
	v_max_u32_e32 v5, 2, v0
	v_fma_f64 v[12:13], -v[10:11], v[14:15], v[12:13]
	v_fma_f64 v[14:15], -v[6:7], v[24:25], v[22:23]
	v_mul_f64 v[6:7], v[6:7], -v[26:27]
	v_lshlrev_b32_e32 v5, 3, v5
	s_waitcnt lgkmcnt(0)
	v_fma_f64 v[14:15], -v[10:11], v[20:21], v[14:15]
	v_mul_f64 v[10:11], v[10:11], -v[18:19]
	s_barrier
	ds_write_b64 v8, v[12:13]
	ds_write_b64 v1, v[14:15] offset:16384
	ds_write_b64 v1, v[6:7]
	ds_write_b64 v9, v[10:11]
	v_add_u32_e32 v6, 0x1f0, v5
	s_waitcnt lgkmcnt(0)
	s_barrier
	v_add_u32_e32 v14, -16, v5
	ds_read2st64_b64 v[10:13], v6 offset0:7 offset1:15
	ds_read_b64 v[6:7], v1
	ds_read_b64 v[22:23], v1 offset:16384
	ds_read_b64 v[24:25], v5 offset:16368
	ds_read_b64 v[26:27], v14
	v_add_u32_e32 v5, 2, v0
	s_waitcnt lgkmcnt(3)
	v_div_scale_f64 v[18:19], s[4:5], v[10:11], v[10:11], v[6:7]
	v_rcp_f64_e32 v[20:21], v[18:19]
	v_cmp_gt_i32_e32 vcc, s8, v5
	v_cndmask_b32_e32 v5, v4, v5, vcc
	v_lshlrev_b32_e32 v5, 3, v5
	v_fma_f64 v[14:15], -v[18:19], v[20:21], 1.0
	v_fmac_f64_e32 v[20:21], v[20:21], v[14:15]
	v_fma_f64 v[14:15], -v[18:19], v[20:21], 1.0
	v_fmac_f64_e32 v[20:21], v[20:21], v[14:15]
	ds_read2st64_b64 v[14:17], v5 offset1:8
	ds_read_b64 v[30:31], v9
	v_div_scale_f64 v[28:29], vcc, v[6:7], v[10:11], v[6:7]
	v_mul_f64 v[32:33], v[28:29], v[20:21]
	v_fma_f64 v[18:19], -v[18:19], v[32:33], v[28:29]
	s_waitcnt lgkmcnt(0)
	v_div_scale_f64 v[34:35], s[4:5], v[16:17], v[16:17], v[30:31]
	v_rcp_f64_e32 v[36:37], v[34:35]
	v_div_fmas_f64 v[18:19], v[18:19], v[20:21], v[32:33]
	v_div_fixup_f64 v[6:7], v[18:19], v[10:11], v[6:7]
	ds_read_b64 v[28:29], v8
	v_fma_f64 v[10:11], -v[34:35], v[36:37], 1.0
	v_fmac_f64_e32 v[36:37], v[36:37], v[10:11]
	v_fma_f64 v[10:11], -v[34:35], v[36:37], 1.0
	v_fmac_f64_e32 v[36:37], v[36:37], v[10:11]
	v_div_scale_f64 v[10:11], vcc, v[30:31], v[16:17], v[30:31]
	v_mul_f64 v[18:19], v[10:11], v[36:37]
	v_fma_f64 v[10:11], -v[34:35], v[18:19], v[10:11]
	s_waitcnt lgkmcnt(0)
	v_fma_f64 v[12:13], -v[6:7], v[12:13], v[28:29]
	v_div_fmas_f64 v[10:11], v[10:11], v[36:37], v[18:19]
	ds_read2st64_b64 v[18:21], v5 offset0:16 offset1:32
	v_div_fixup_f64 v[10:11], v[10:11], v[16:17], v[30:31]
	v_max_u32_e32 v5, 4, v0
	v_fma_f64 v[12:13], -v[10:11], v[14:15], v[12:13]
	v_fma_f64 v[14:15], -v[6:7], v[24:25], v[22:23]
	v_mul_f64 v[6:7], v[6:7], -v[26:27]
	v_lshlrev_b32_e32 v5, 3, v5
	s_waitcnt lgkmcnt(0)
	v_fma_f64 v[14:15], -v[10:11], v[20:21], v[14:15]
	v_mul_f64 v[10:11], v[10:11], -v[18:19]
	s_barrier
	ds_write_b64 v8, v[12:13]
	ds_write_b64 v1, v[14:15] offset:16384
	ds_write_b64 v1, v[6:7]
	ds_write_b64 v9, v[10:11]
	v_add_u32_e32 v6, 0x1e0, v5
	s_waitcnt lgkmcnt(0)
	s_barrier
	v_subrev_u32_e32 v14, 32, v5
	ds_read2st64_b64 v[10:13], v6 offset0:7 offset1:15
	ds_read_b64 v[6:7], v1
	ds_read_b64 v[22:23], v1 offset:16384
	ds_read_b64 v[24:25], v5 offset:16352
	ds_read_b64 v[26:27], v14
	v_add_u32_e32 v5, 4, v0
	s_waitcnt lgkmcnt(3)
	v_div_scale_f64 v[18:19], s[4:5], v[10:11], v[10:11], v[6:7]
	v_rcp_f64_e32 v[20:21], v[18:19]
	v_cmp_gt_i32_e32 vcc, s8, v5
	v_cndmask_b32_e32 v5, v4, v5, vcc
	v_lshlrev_b32_e32 v5, 3, v5
	v_fma_f64 v[14:15], -v[18:19], v[20:21], 1.0
	v_fmac_f64_e32 v[20:21], v[20:21], v[14:15]
	v_fma_f64 v[14:15], -v[18:19], v[20:21], 1.0
	v_fmac_f64_e32 v[20:21], v[20:21], v[14:15]
	ds_read2st64_b64 v[14:17], v5 offset1:8
	ds_read_b64 v[30:31], v9
	v_div_scale_f64 v[28:29], vcc, v[6:7], v[10:11], v[6:7]
	v_mul_f64 v[32:33], v[28:29], v[20:21]
	v_fma_f64 v[18:19], -v[18:19], v[32:33], v[28:29]
	s_waitcnt lgkmcnt(0)
	v_div_scale_f64 v[34:35], s[4:5], v[16:17], v[16:17], v[30:31]
	v_rcp_f64_e32 v[36:37], v[34:35]
	v_div_fmas_f64 v[18:19], v[18:19], v[20:21], v[32:33]
	v_div_fixup_f64 v[6:7], v[18:19], v[10:11], v[6:7]
	ds_read_b64 v[28:29], v8
	v_fma_f64 v[10:11], -v[34:35], v[36:37], 1.0
	v_fmac_f64_e32 v[36:37], v[36:37], v[10:11]
	v_fma_f64 v[10:11], -v[34:35], v[36:37], 1.0
	v_fmac_f64_e32 v[36:37], v[36:37], v[10:11]
	v_div_scale_f64 v[10:11], vcc, v[30:31], v[16:17], v[30:31]
	v_mul_f64 v[18:19], v[10:11], v[36:37]
	v_fma_f64 v[10:11], -v[34:35], v[18:19], v[10:11]
	s_waitcnt lgkmcnt(0)
	v_fma_f64 v[12:13], -v[6:7], v[12:13], v[28:29]
	v_div_fmas_f64 v[10:11], v[10:11], v[36:37], v[18:19]
	ds_read2st64_b64 v[18:21], v5 offset0:16 offset1:32
	v_div_fixup_f64 v[10:11], v[10:11], v[16:17], v[30:31]
	v_max_u32_e32 v5, 8, v0
	v_fma_f64 v[12:13], -v[10:11], v[14:15], v[12:13]
	v_fma_f64 v[14:15], -v[6:7], v[24:25], v[22:23]
	v_mul_f64 v[6:7], v[6:7], -v[26:27]
	v_lshlrev_b32_e32 v5, 3, v5
	s_waitcnt lgkmcnt(0)
	v_fma_f64 v[14:15], -v[10:11], v[20:21], v[14:15]
	v_mul_f64 v[10:11], v[10:11], -v[18:19]
	s_barrier
	ds_write_b64 v8, v[12:13]
	ds_write_b64 v1, v[14:15] offset:16384
	ds_write_b64 v1, v[6:7]
	ds_write_b64 v9, v[10:11]
	v_add_u32_e32 v6, 0x1c0, v5
	s_waitcnt lgkmcnt(0)
	s_barrier
	v_subrev_u32_e32 v14, 64, v5
	ds_read2st64_b64 v[10:13], v6 offset0:7 offset1:15
	ds_read_b64 v[6:7], v1
	ds_read_b64 v[22:23], v1 offset:16384
	ds_read_b64 v[24:25], v5 offset:16320
	ds_read_b64 v[26:27], v14
	v_add_u32_e32 v5, 8, v0
	s_waitcnt lgkmcnt(3)
	v_div_scale_f64 v[18:19], s[4:5], v[10:11], v[10:11], v[6:7]
	v_rcp_f64_e32 v[20:21], v[18:19]
	v_cmp_gt_i32_e32 vcc, s8, v5
	v_cndmask_b32_e32 v5, v4, v5, vcc
	v_lshlrev_b32_e32 v5, 3, v5
	v_fma_f64 v[14:15], -v[18:19], v[20:21], 1.0
	v_fmac_f64_e32 v[20:21], v[20:21], v[14:15]
	v_fma_f64 v[14:15], -v[18:19], v[20:21], 1.0
	v_fmac_f64_e32 v[20:21], v[20:21], v[14:15]
	ds_read2st64_b64 v[14:17], v5 offset1:8
	ds_read_b64 v[30:31], v9
	v_div_scale_f64 v[28:29], vcc, v[6:7], v[10:11], v[6:7]
	v_mul_f64 v[32:33], v[28:29], v[20:21]
	v_fma_f64 v[18:19], -v[18:19], v[32:33], v[28:29]
	s_waitcnt lgkmcnt(0)
	v_div_scale_f64 v[34:35], s[4:5], v[16:17], v[16:17], v[30:31]
	v_rcp_f64_e32 v[36:37], v[34:35]
	v_div_fmas_f64 v[18:19], v[18:19], v[20:21], v[32:33]
	v_div_fixup_f64 v[6:7], v[18:19], v[10:11], v[6:7]
	ds_read_b64 v[28:29], v8
	v_fma_f64 v[10:11], -v[34:35], v[36:37], 1.0
	v_fmac_f64_e32 v[36:37], v[36:37], v[10:11]
	v_fma_f64 v[10:11], -v[34:35], v[36:37], 1.0
	v_fmac_f64_e32 v[36:37], v[36:37], v[10:11]
	v_div_scale_f64 v[10:11], vcc, v[30:31], v[16:17], v[30:31]
	v_mul_f64 v[18:19], v[10:11], v[36:37]
	v_fma_f64 v[10:11], -v[34:35], v[18:19], v[10:11]
	s_waitcnt lgkmcnt(0)
	v_fma_f64 v[12:13], -v[6:7], v[12:13], v[28:29]
	v_div_fmas_f64 v[10:11], v[10:11], v[36:37], v[18:19]
	ds_read2st64_b64 v[18:21], v5 offset0:16 offset1:32
	v_div_fixup_f64 v[10:11], v[10:11], v[16:17], v[30:31]
	v_max_u32_e32 v5, 16, v0
	v_fma_f64 v[12:13], -v[10:11], v[14:15], v[12:13]
	v_fma_f64 v[14:15], -v[6:7], v[24:25], v[22:23]
	v_mul_f64 v[6:7], v[6:7], -v[26:27]
	v_lshlrev_b32_e32 v5, 3, v5
	s_waitcnt lgkmcnt(0)
	v_fma_f64 v[14:15], -v[10:11], v[20:21], v[14:15]
	v_mul_f64 v[10:11], v[10:11], -v[18:19]
	s_barrier
	ds_write_b64 v8, v[12:13]
	ds_write_b64 v1, v[14:15] offset:16384
	ds_write_b64 v1, v[6:7]
	ds_write_b64 v9, v[10:11]
	v_add_u32_e32 v6, 0x180, v5
	s_waitcnt lgkmcnt(0)
	s_barrier
	v_add_u32_e32 v14, 0xffffff80, v5
	ds_read2st64_b64 v[10:13], v6 offset0:7 offset1:15
	ds_read_b64 v[6:7], v1
	ds_read_b64 v[22:23], v1 offset:16384
	ds_read_b64 v[24:25], v5 offset:16256
	ds_read_b64 v[26:27], v14
	v_add_u32_e32 v5, 16, v0
	s_waitcnt lgkmcnt(3)
	v_div_scale_f64 v[18:19], s[4:5], v[10:11], v[10:11], v[6:7]
	v_rcp_f64_e32 v[20:21], v[18:19]
	v_cmp_gt_i32_e32 vcc, s8, v5
	v_cndmask_b32_e32 v5, v4, v5, vcc
	v_lshlrev_b32_e32 v5, 3, v5
	v_fma_f64 v[14:15], -v[18:19], v[20:21], 1.0
	v_fmac_f64_e32 v[20:21], v[20:21], v[14:15]
	v_fma_f64 v[14:15], -v[18:19], v[20:21], 1.0
	v_fmac_f64_e32 v[20:21], v[20:21], v[14:15]
	ds_read2st64_b64 v[14:17], v5 offset1:8
	ds_read_b64 v[30:31], v9
	v_div_scale_f64 v[28:29], vcc, v[6:7], v[10:11], v[6:7]
	v_mul_f64 v[32:33], v[28:29], v[20:21]
	v_fma_f64 v[18:19], -v[18:19], v[32:33], v[28:29]
	s_waitcnt lgkmcnt(0)
	v_div_scale_f64 v[34:35], s[4:5], v[16:17], v[16:17], v[30:31]
	v_rcp_f64_e32 v[36:37], v[34:35]
	v_div_fmas_f64 v[18:19], v[18:19], v[20:21], v[32:33]
	v_div_fixup_f64 v[6:7], v[18:19], v[10:11], v[6:7]
	ds_read_b64 v[28:29], v8
	v_fma_f64 v[10:11], -v[34:35], v[36:37], 1.0
	v_fmac_f64_e32 v[36:37], v[36:37], v[10:11]
	v_fma_f64 v[10:11], -v[34:35], v[36:37], 1.0
	v_fmac_f64_e32 v[36:37], v[36:37], v[10:11]
	v_div_scale_f64 v[10:11], vcc, v[30:31], v[16:17], v[30:31]
	v_mul_f64 v[18:19], v[10:11], v[36:37]
	v_fma_f64 v[10:11], -v[34:35], v[18:19], v[10:11]
	s_waitcnt lgkmcnt(0)
	v_fma_f64 v[12:13], -v[6:7], v[12:13], v[28:29]
	v_div_fmas_f64 v[10:11], v[10:11], v[36:37], v[18:19]
	ds_read2st64_b64 v[18:21], v5 offset0:16 offset1:32
	v_div_fixup_f64 v[10:11], v[10:11], v[16:17], v[30:31]
	v_fma_f64 v[12:13], -v[10:11], v[14:15], v[12:13]
	v_fma_f64 v[14:15], -v[6:7], v[24:25], v[22:23]
	v_mul_f64 v[6:7], v[6:7], -v[26:27]
	s_waitcnt lgkmcnt(0)
	v_fma_f64 v[14:15], -v[10:11], v[20:21], v[14:15]
	v_mul_f64 v[10:11], v[10:11], -v[18:19]
	s_barrier
	ds_write_b64 v8, v[12:13]
	ds_write_b64 v1, v[14:15] offset:16384
	ds_write_b64 v1, v[6:7]
	ds_write_b64 v9, v[10:11]
	v_max_u32_e32 v6, 32, v0
	v_lshlrev_b32_e32 v14, 3, v6
	v_add_u32_e32 v6, 0x100, v14
	s_waitcnt lgkmcnt(0)
	s_barrier
	v_add_u32_e32 v15, 0xffffff00, v14
	ds_read2st64_b64 v[10:13], v6 offset0:7 offset1:15
	ds_read_b64 v[6:7], v1
	ds_read_b64 v[22:23], v1 offset:16384
	ds_read_b64 v[24:25], v14 offset:16128
	ds_read_b64 v[26:27], v15
	v_add_u32_e32 v5, 32, v0
	s_waitcnt lgkmcnt(3)
	v_div_scale_f64 v[18:19], s[4:5], v[10:11], v[10:11], v[6:7]
	v_rcp_f64_e32 v[20:21], v[18:19]
	v_cmp_gt_i32_e32 vcc, s8, v5
	v_cndmask_b32_e32 v5, v4, v5, vcc
	v_lshlrev_b32_e32 v5, 3, v5
	v_fma_f64 v[14:15], -v[18:19], v[20:21], 1.0
	v_fmac_f64_e32 v[20:21], v[20:21], v[14:15]
	v_fma_f64 v[14:15], -v[18:19], v[20:21], 1.0
	v_fmac_f64_e32 v[20:21], v[20:21], v[14:15]
	ds_read2st64_b64 v[14:17], v5 offset1:8
	ds_read_b64 v[30:31], v9
	v_div_scale_f64 v[28:29], vcc, v[6:7], v[10:11], v[6:7]
	v_mul_f64 v[32:33], v[28:29], v[20:21]
	v_fma_f64 v[18:19], -v[18:19], v[32:33], v[28:29]
	s_waitcnt lgkmcnt(0)
	v_div_scale_f64 v[34:35], s[6:7], v[16:17], v[16:17], v[30:31]
	v_rcp_f64_e32 v[36:37], v[34:35]
	v_div_fmas_f64 v[18:19], v[18:19], v[20:21], v[32:33]
	v_div_fixup_f64 v[6:7], v[18:19], v[10:11], v[6:7]
	ds_read_b64 v[28:29], v8
	v_fma_f64 v[10:11], -v[34:35], v[36:37], 1.0
	v_fmac_f64_e32 v[36:37], v[36:37], v[10:11]
	v_fma_f64 v[10:11], -v[34:35], v[36:37], 1.0
	v_fmac_f64_e32 v[36:37], v[36:37], v[10:11]
	v_div_scale_f64 v[10:11], vcc, v[30:31], v[16:17], v[30:31]
	v_mul_f64 v[18:19], v[10:11], v[36:37]
	v_fma_f64 v[10:11], -v[34:35], v[18:19], v[10:11]
	s_waitcnt lgkmcnt(0)
	v_fma_f64 v[12:13], -v[6:7], v[12:13], v[28:29]
	v_div_fmas_f64 v[10:11], v[10:11], v[36:37], v[18:19]
	ds_read2st64_b64 v[18:21], v5 offset0:16 offset1:32
	v_div_fixup_f64 v[10:11], v[10:11], v[16:17], v[30:31]
	v_fma_f64 v[12:13], -v[10:11], v[14:15], v[12:13]
	v_fma_f64 v[14:15], -v[6:7], v[24:25], v[22:23]
	v_max_u32_e32 v5, 64, v0
	s_waitcnt lgkmcnt(0)
	v_fma_f64 v[14:15], -v[10:11], v[20:21], v[14:15]
	v_mul_f64 v[6:7], v[6:7], -v[26:27]
	v_mul_f64 v[10:11], v[10:11], -v[18:19]
	v_lshlrev_b32_e32 v5, 3, v5
	s_barrier
	ds_write_b64 v8, v[12:13]
	ds_write_b64 v1, v[14:15] offset:16384
	ds_write_b64 v1, v[6:7]
	ds_write_b64 v9, v[10:11]
	s_waitcnt lgkmcnt(0)
	s_barrier
	v_add_u32_e32 v14, 0xfffffe00, v5
	ds_read2st64_b64 v[10:13], v5 offset0:7 offset1:15
	ds_read_b64 v[6:7], v1
	ds_read_b64 v[22:23], v1 offset:16384
	ds_read_b64 v[24:25], v5 offset:15872
	ds_read_b64 v[26:27], v14
	v_add_u32_e32 v5, 64, v0
	s_waitcnt lgkmcnt(3)
	v_div_scale_f64 v[18:19], s[6:7], v[10:11], v[10:11], v[6:7]
	v_rcp_f64_e32 v[20:21], v[18:19]
	v_cmp_gt_i32_e32 vcc, s8, v5
	v_cndmask_b32_e32 v5, v4, v5, vcc
	v_lshlrev_b32_e32 v5, 3, v5
	v_fma_f64 v[14:15], -v[18:19], v[20:21], 1.0
	v_fmac_f64_e32 v[20:21], v[20:21], v[14:15]
	v_fma_f64 v[14:15], -v[18:19], v[20:21], 1.0
	v_fmac_f64_e32 v[20:21], v[20:21], v[14:15]
	ds_read2st64_b64 v[14:17], v5 offset1:8
	ds_read_b64 v[30:31], v9
	v_div_scale_f64 v[28:29], vcc, v[6:7], v[10:11], v[6:7]
	v_mul_f64 v[32:33], v[28:29], v[20:21]
	v_fma_f64 v[18:19], -v[18:19], v[32:33], v[28:29]
	s_waitcnt lgkmcnt(0)
	v_div_scale_f64 v[34:35], s[6:7], v[16:17], v[16:17], v[30:31]
	v_rcp_f64_e32 v[36:37], v[34:35]
	v_div_fmas_f64 v[18:19], v[18:19], v[20:21], v[32:33]
	v_div_fixup_f64 v[6:7], v[18:19], v[10:11], v[6:7]
	ds_read_b64 v[28:29], v8
	v_fma_f64 v[10:11], -v[34:35], v[36:37], 1.0
	v_fmac_f64_e32 v[36:37], v[36:37], v[10:11]
	v_fma_f64 v[10:11], -v[34:35], v[36:37], 1.0
	v_fmac_f64_e32 v[36:37], v[36:37], v[10:11]
	v_div_scale_f64 v[10:11], vcc, v[30:31], v[16:17], v[30:31]
	v_mul_f64 v[18:19], v[10:11], v[36:37]
	v_fma_f64 v[10:11], -v[34:35], v[18:19], v[10:11]
	s_waitcnt lgkmcnt(0)
	v_fma_f64 v[12:13], -v[6:7], v[12:13], v[28:29]
	v_div_fmas_f64 v[10:11], v[10:11], v[36:37], v[18:19]
	ds_read2st64_b64 v[18:21], v5 offset0:16 offset1:32
	v_div_fixup_f64 v[10:11], v[10:11], v[16:17], v[30:31]
	v_fma_f64 v[12:13], -v[10:11], v[14:15], v[12:13]
	v_fma_f64 v[14:15], -v[6:7], v[24:25], v[22:23]
	v_max_u32_e32 v5, 0x80, v0
	s_waitcnt lgkmcnt(0)
	v_fma_f64 v[14:15], -v[10:11], v[20:21], v[14:15]
	v_mul_f64 v[6:7], v[6:7], -v[26:27]
	v_mul_f64 v[10:11], v[10:11], -v[18:19]
	v_lshlrev_b32_e32 v5, 3, v5
	s_barrier
	ds_write_b64 v8, v[12:13]
	ds_write_b64 v1, v[14:15] offset:16384
	ds_write_b64 v1, v[6:7]
	ds_write_b64 v9, v[10:11]
	s_waitcnt lgkmcnt(0)
	s_barrier
	v_add_u32_e32 v6, 0xfffffc00, v5
	ds_read2st64_b64 v[10:13], v5 offset0:6 offset1:14
	ds_read_b64 v[14:15], v1
	ds_read_b64 v[18:19], v1 offset:16384
	ds_read_b64 v[20:21], v5 offset:15360
	ds_read_b64 v[22:23], v6
	v_add_u32_e32 v5, 0x80, v0
	s_waitcnt lgkmcnt(3)
	v_div_scale_f64 v[16:17], s[6:7], v[10:11], v[10:11], v[14:15]
	v_rcp_f64_e32 v[24:25], v[16:17]
	v_cmp_gt_i32_e32 vcc, s8, v5
	v_cndmask_b32_e32 v6, v4, v5, vcc
	v_lshlrev_b32_e32 v36, 3, v6
	v_fma_f64 v[4:5], -v[16:17], v[24:25], 1.0
	v_fmac_f64_e32 v[24:25], v[24:25], v[4:5]
	v_fma_f64 v[4:5], -v[16:17], v[24:25], 1.0
	v_fmac_f64_e32 v[24:25], v[24:25], v[4:5]
	ds_read2st64_b64 v[4:7], v36 offset1:8
	ds_read_b64 v[28:29], v9
	v_div_scale_f64 v[26:27], vcc, v[14:15], v[10:11], v[14:15]
	v_mul_f64 v[30:31], v[26:27], v[24:25]
	v_fma_f64 v[16:17], -v[16:17], v[30:31], v[26:27]
	s_waitcnt lgkmcnt(0)
	v_div_scale_f64 v[32:33], s[6:7], v[6:7], v[6:7], v[28:29]
	v_rcp_f64_e32 v[34:35], v[32:33]
	v_div_fmas_f64 v[16:17], v[16:17], v[24:25], v[30:31]
	v_div_fixup_f64 v[10:11], v[16:17], v[10:11], v[14:15]
	ds_read_b64 v[26:27], v8
	v_fma_f64 v[14:15], -v[32:33], v[34:35], 1.0
	v_fmac_f64_e32 v[34:35], v[34:35], v[14:15]
	v_fma_f64 v[14:15], -v[32:33], v[34:35], 1.0
	v_fmac_f64_e32 v[34:35], v[34:35], v[14:15]
	v_div_scale_f64 v[14:15], vcc, v[28:29], v[6:7], v[28:29]
	v_mul_f64 v[16:17], v[14:15], v[34:35]
	v_fma_f64 v[14:15], -v[32:33], v[16:17], v[14:15]
	s_movk_i32 s4, 0x100
	s_nop 0
	v_div_fmas_f64 v[24:25], v[14:15], v[34:35], v[16:17]
	ds_read2st64_b64 v[14:17], v36 offset0:16 offset1:32
	v_div_fixup_f64 v[6:7], v[24:25], v[6:7], v[28:29]
	s_waitcnt lgkmcnt(1)
	v_fma_f64 v[12:13], -v[10:11], v[12:13], v[26:27]
	v_fma_f64 v[4:5], -v[6:7], v[4:5], v[12:13]
	;; [unrolled: 1-line block ×3, first 2 shown]
	v_cmp_gt_u32_e32 vcc, s4, v0
	s_waitcnt lgkmcnt(0)
	v_fma_f64 v[12:13], -v[6:7], v[16:17], v[12:13]
	v_mul_f64 v[10:11], v[10:11], -v[22:23]
	v_mul_f64 v[6:7], v[6:7], -v[14:15]
	s_barrier
	ds_write_b64 v8, v[4:5]
	ds_write_b64 v1, v[12:13] offset:16384
	ds_write_b64 v1, v[10:11]
	ds_write_b64 v9, v[6:7]
	s_waitcnt lgkmcnt(0)
	s_barrier
	s_and_saveexec_b64 s[4:5], vcc
	s_cbranch_execz .LBB37_14
; %bb.9:
	v_or_b32_e32 v6, 0x100, v0
	v_or_b32_e32 v7, 0x4000, v1
	v_cmp_le_i32_e32 vcc, s8, v6
                                        ; implicit-def: $vgpr4_vgpr5
	s_and_saveexec_b64 s[6:7], vcc
	s_xor_b64 s[6:7], exec, s[6:7]
	s_cbranch_execz .LBB37_11
; %bb.10:
	ds_read_b64 v[4:5], v7
	ds_read_b64 v[6:7], v8
	s_waitcnt lgkmcnt(0)
	v_div_scale_f64 v[8:9], s[8:9], v[6:7], v[6:7], v[4:5]
	v_rcp_f64_e32 v[10:11], v[8:9]
	v_div_scale_f64 v[12:13], vcc, v[4:5], v[6:7], v[4:5]
	v_fma_f64 v[14:15], -v[8:9], v[10:11], 1.0
	v_fmac_f64_e32 v[10:11], v[10:11], v[14:15]
	v_fma_f64 v[14:15], -v[8:9], v[10:11], 1.0
	v_fmac_f64_e32 v[10:11], v[10:11], v[14:15]
	v_mul_f64 v[14:15], v[12:13], v[10:11]
	v_fma_f64 v[8:9], -v[8:9], v[14:15], v[12:13]
	v_div_fmas_f64 v[8:9], v[8:9], v[10:11], v[14:15]
	v_div_fixup_f64 v[4:5], v[8:9], v[6:7], v[4:5]
                                        ; implicit-def: $vgpr8
                                        ; implicit-def: $vgpr9
                                        ; implicit-def: $vgpr7
                                        ; implicit-def: $vgpr6
.LBB37_11:
	s_andn2_saveexec_b64 s[6:7], s[6:7]
	s_cbranch_execz .LBB37_13
; %bb.12:
	ds_read_b64 v[4:5], v9
	ds_read_b64 v[16:17], v1 offset:2048
	ds_read2st64_b64 v[8:11], v8 offset1:4
	v_mov_b32_e32 v0, v6
	s_waitcnt lgkmcnt(1)
	v_mul_f64 v[12:13], v[4:5], v[16:17]
	s_waitcnt lgkmcnt(0)
	v_fma_f64 v[18:19], v[10:11], v[8:9], -v[12:13]
	v_div_scale_f64 v[20:21], s[8:9], v[18:19], v[18:19], 1.0
	v_rcp_f64_e32 v[22:23], v[20:21]
	ds_read2st64_b64 v[12:15], v7 offset1:4
	v_div_scale_f64 v[24:25], vcc, 1.0, v[18:19], 1.0
	v_fma_f64 v[26:27], -v[20:21], v[22:23], 1.0
	v_fmac_f64_e32 v[22:23], v[22:23], v[26:27]
	v_fma_f64 v[26:27], -v[20:21], v[22:23], 1.0
	v_fmac_f64_e32 v[22:23], v[22:23], v[26:27]
	v_mul_f64 v[26:27], v[24:25], v[22:23]
	v_fma_f64 v[20:21], -v[20:21], v[26:27], v[24:25]
	v_div_fmas_f64 v[20:21], v[20:21], v[22:23], v[26:27]
	s_waitcnt lgkmcnt(0)
	v_mul_f64 v[4:5], v[4:5], v[14:15]
	v_div_fixup_f64 v[18:19], v[20:21], v[18:19], 1.0
	v_fma_f64 v[4:5], v[10:11], v[12:13], -v[4:5]
	v_mul_f64 v[4:5], v[18:19], v[4:5]
	ds_write_b64 v1, v[4:5] offset:12288
	v_mul_f64 v[4:5], v[16:17], v[12:13]
	v_fma_f64 v[4:5], v[8:9], v[14:15], -v[4:5]
	v_mul_f64 v[4:5], v[18:19], v[4:5]
.LBB37_13:
	s_or_b64 exec, exec, s[6:7]
	v_lshlrev_b32_e32 v0, 3, v0
	ds_write_b64 v0, v[4:5] offset:12288
.LBB37_14:
	s_or_b64 exec, exec, s[4:5]
	s_waitcnt lgkmcnt(0)
	s_barrier
	s_and_saveexec_b64 s[4:5], s[0:1]
	s_cbranch_execz .LBB37_16
; %bb.15:
	ds_read_b64 v[0:1], v1 offset:12288
	v_lshlrev_b64 v[2:3], 3, v[2:3]
	v_mov_b32_e32 v4, s3
	v_add_co_u32_e32 v2, vcc, s2, v2
	v_addc_co_u32_e32 v3, vcc, v4, v3, vcc
	s_waitcnt lgkmcnt(0)
	global_store_dwordx2 v[2:3], v[0:1], off
.LBB37_16:
	s_endpgm
	.section	.rodata,"a",@progbits
	.p2align	6, 0x0
	.amdhsa_kernel _ZN9rocsparseL44gtsv_nopivot_strided_batch_pcr_shared_kernelILj512EdEEviiiPKT0_S3_S3_PS1_
		.amdhsa_group_segment_fixed_size 20480
		.amdhsa_private_segment_fixed_size 0
		.amdhsa_kernarg_size 48
		.amdhsa_user_sgpr_count 6
		.amdhsa_user_sgpr_private_segment_buffer 1
		.amdhsa_user_sgpr_dispatch_ptr 0
		.amdhsa_user_sgpr_queue_ptr 0
		.amdhsa_user_sgpr_kernarg_segment_ptr 1
		.amdhsa_user_sgpr_dispatch_id 0
		.amdhsa_user_sgpr_flat_scratch_init 0
		.amdhsa_user_sgpr_kernarg_preload_length 0
		.amdhsa_user_sgpr_kernarg_preload_offset 0
		.amdhsa_user_sgpr_private_segment_size 0
		.amdhsa_uses_dynamic_stack 0
		.amdhsa_system_sgpr_private_segment_wavefront_offset 0
		.amdhsa_system_sgpr_workgroup_id_x 1
		.amdhsa_system_sgpr_workgroup_id_y 0
		.amdhsa_system_sgpr_workgroup_id_z 0
		.amdhsa_system_sgpr_workgroup_info 0
		.amdhsa_system_vgpr_workitem_id 0
		.amdhsa_next_free_vgpr 38
		.amdhsa_next_free_sgpr 10
		.amdhsa_accum_offset 40
		.amdhsa_reserve_vcc 1
		.amdhsa_reserve_flat_scratch 0
		.amdhsa_float_round_mode_32 0
		.amdhsa_float_round_mode_16_64 0
		.amdhsa_float_denorm_mode_32 3
		.amdhsa_float_denorm_mode_16_64 3
		.amdhsa_dx10_clamp 1
		.amdhsa_ieee_mode 1
		.amdhsa_fp16_overflow 0
		.amdhsa_tg_split 0
		.amdhsa_exception_fp_ieee_invalid_op 0
		.amdhsa_exception_fp_denorm_src 0
		.amdhsa_exception_fp_ieee_div_zero 0
		.amdhsa_exception_fp_ieee_overflow 0
		.amdhsa_exception_fp_ieee_underflow 0
		.amdhsa_exception_fp_ieee_inexact 0
		.amdhsa_exception_int_div_zero 0
	.end_amdhsa_kernel
	.section	.text._ZN9rocsparseL44gtsv_nopivot_strided_batch_pcr_shared_kernelILj512EdEEviiiPKT0_S3_S3_PS1_,"axG",@progbits,_ZN9rocsparseL44gtsv_nopivot_strided_batch_pcr_shared_kernelILj512EdEEviiiPKT0_S3_S3_PS1_,comdat
.Lfunc_end37:
	.size	_ZN9rocsparseL44gtsv_nopivot_strided_batch_pcr_shared_kernelILj512EdEEviiiPKT0_S3_S3_PS1_, .Lfunc_end37-_ZN9rocsparseL44gtsv_nopivot_strided_batch_pcr_shared_kernelILj512EdEEviiiPKT0_S3_S3_PS1_
                                        ; -- End function
	.section	.AMDGPU.csdata,"",@progbits
; Kernel info:
; codeLenInByte = 3748
; NumSgprs: 14
; NumVgprs: 38
; NumAgprs: 0
; TotalNumVgprs: 38
; ScratchSize: 0
; MemoryBound: 0
; FloatMode: 240
; IeeeMode: 1
; LDSByteSize: 20480 bytes/workgroup (compile time only)
; SGPRBlocks: 1
; VGPRBlocks: 4
; NumSGPRsForWavesPerEU: 14
; NumVGPRsForWavesPerEU: 38
; AccumOffset: 40
; Occupancy: 6
; WaveLimiterHint : 0
; COMPUTE_PGM_RSRC2:SCRATCH_EN: 0
; COMPUTE_PGM_RSRC2:USER_SGPR: 6
; COMPUTE_PGM_RSRC2:TRAP_HANDLER: 0
; COMPUTE_PGM_RSRC2:TGID_X_EN: 1
; COMPUTE_PGM_RSRC2:TGID_Y_EN: 0
; COMPUTE_PGM_RSRC2:TGID_Z_EN: 0
; COMPUTE_PGM_RSRC2:TIDIG_COMP_CNT: 0
; COMPUTE_PGM_RSRC3_GFX90A:ACCUM_OFFSET: 9
; COMPUTE_PGM_RSRC3_GFX90A:TG_SPLIT: 0
	.section	.text._ZN9rocsparseL49gtsv_nopivot_strided_batch_pcr_pow2_stage1_kernelILj256EdEEviiiiPKT0_S3_S3_S3_PS1_S4_S4_S4_,"axG",@progbits,_ZN9rocsparseL49gtsv_nopivot_strided_batch_pcr_pow2_stage1_kernelILj256EdEEviiiiPKT0_S3_S3_S3_PS1_S4_S4_S4_,comdat
	.globl	_ZN9rocsparseL49gtsv_nopivot_strided_batch_pcr_pow2_stage1_kernelILj256EdEEviiiiPKT0_S3_S3_S3_PS1_S4_S4_S4_ ; -- Begin function _ZN9rocsparseL49gtsv_nopivot_strided_batch_pcr_pow2_stage1_kernelILj256EdEEviiiiPKT0_S3_S3_S3_PS1_S4_S4_S4_
	.p2align	8
	.type	_ZN9rocsparseL49gtsv_nopivot_strided_batch_pcr_pow2_stage1_kernelILj256EdEEviiiiPKT0_S3_S3_S3_PS1_S4_S4_S4_,@function
_ZN9rocsparseL49gtsv_nopivot_strided_batch_pcr_pow2_stage1_kernelILj256EdEEviiiiPKT0_S3_S3_S3_PS1_S4_S4_S4_: ; @_ZN9rocsparseL49gtsv_nopivot_strided_batch_pcr_pow2_stage1_kernelILj256EdEEviiiiPKT0_S3_S3_S3_PS1_S4_S4_S4_
; %bb.0:
	s_load_dwordx2 s[24:25], s[4:5], 0x0
	s_load_dwordx8 s[8:15], s[4:5], 0x30
	s_load_dword s26, s[4:5], 0xc
	s_load_dwordx8 s[16:23], s[4:5], 0x10
	v_lshl_or_b32 v0, s6, 8, v0
	s_waitcnt lgkmcnt(0)
	s_add_i32 s0, s25, -1
	v_mov_b32_e32 v2, s0
	s_mul_i32 s0, s7, s25
	s_ashr_i32 s1, s0, 31
	s_lshl_b64 s[4:5], s[0:1], 3
	s_add_u32 s2, s14, s4
	s_mul_i32 s0, s7, s26
	s_addc_u32 s3, s15, s5
	s_ashr_i32 s1, s0, 31
	s_lshl_b64 s[6:7], s[0:1], 3
	s_add_u32 s14, s22, s6
	s_addc_u32 s15, s23, s7
	s_add_u32 s0, s12, s4
	s_addc_u32 s1, s13, s5
	;; [unrolled: 2-line block ×4, first 2 shown]
	s_add_u32 s18, s18, s6
	v_add_u32_e32 v1, s24, v0
	s_addc_u32 s19, s19, s7
	v_cmp_gt_i32_e32 vcc, s25, v1
	s_add_u32 s8, s8, s4
	v_cndmask_b32_e32 v2, v2, v1, vcc
	s_addc_u32 s9, s9, s5
	v_subrev_u32_e32 v1, s24, v0
	s_add_u32 s4, s16, s6
	v_max_i32_e32 v4, 0, v1
	v_ashrrev_i32_e32 v1, 31, v0
	s_addc_u32 s5, s17, s7
	v_lshlrev_b64 v[0:1], 3, v[0:1]
	v_mov_b32_e32 v3, s5
	v_add_co_u32_e32 v6, vcc, s4, v0
	v_mov_b32_e32 v5, 0
	v_addc_co_u32_e32 v7, vcc, v3, v1, vcc
	v_lshlrev_b64 v[4:5], 3, v[4:5]
	v_mov_b32_e32 v3, s19
	v_add_co_u32_e32 v8, vcc, s18, v4
	v_addc_co_u32_e32 v9, vcc, v3, v5, vcc
	global_load_dwordx2 v[6:7], v[6:7], off
	v_mov_b32_e32 v3, s13
	global_load_dwordx2 v[8:9], v[8:9], off
	v_add_co_u32_e32 v10, vcc, s12, v0
	v_addc_co_u32_e32 v11, vcc, v3, v1, vcc
	v_ashrrev_i32_e32 v3, 31, v2
	v_lshlrev_b64 v[2:3], 3, v[2:3]
	v_mov_b32_e32 v13, s19
	v_add_co_u32_e32 v12, vcc, s18, v2
	v_addc_co_u32_e32 v13, vcc, v13, v3, vcc
	global_load_dwordx2 v[10:11], v[10:11], off
	v_mov_b32_e32 v15, s15
	global_load_dwordx2 v[12:13], v[12:13], off
	v_add_co_u32_e32 v14, vcc, s14, v2
	v_addc_co_u32_e32 v15, vcc, v15, v3, vcc
	v_mov_b32_e32 v17, s15
	v_add_co_u32_e32 v16, vcc, s14, v4
	v_addc_co_u32_e32 v17, vcc, v17, v5, vcc
	v_mov_b32_e32 v19, s19
	v_add_co_u32_e32 v18, vcc, s18, v0
	v_addc_co_u32_e32 v19, vcc, v19, v1, vcc
	global_load_dwordx2 v[18:19], v[18:19], off
	v_mov_b32_e32 v21, s13
	v_add_co_u32_e32 v20, vcc, s12, v4
	v_addc_co_u32_e32 v21, vcc, v21, v5, vcc
	v_mov_b32_e32 v23, s5
	v_add_co_u32_e32 v22, vcc, s4, v2
	v_addc_co_u32_e32 v23, vcc, v23, v3, vcc
	global_load_dwordx2 v[20:21], v[20:21], off
	s_nop 0
	global_load_dwordx2 v[24:25], v[22:23], off
	global_load_dwordx2 v[26:27], v[16:17], off
	v_mov_b32_e32 v17, s15
	v_add_co_u32_e32 v16, vcc, s14, v0
	v_addc_co_u32_e32 v17, vcc, v17, v1, vcc
	global_load_dwordx2 v[22:23], v[16:17], off
	global_load_dwordx2 v[28:29], v[14:15], off
	v_mov_b32_e32 v14, s5
	v_add_co_u32_e32 v4, vcc, s4, v4
	v_addc_co_u32_e32 v5, vcc, v14, v5, vcc
	global_load_dwordx2 v[4:5], v[4:5], off
	v_mov_b32_e32 v14, s13
	v_add_co_u32_e32 v2, vcc, s12, v2
	v_addc_co_u32_e32 v3, vcc, v14, v3, vcc
	global_load_dwordx2 v[2:3], v[2:3], off
	s_waitcnt vmcnt(10)
	v_div_scale_f64 v[14:15], s[4:5], v[8:9], v[8:9], v[6:7]
	v_rcp_f64_e32 v[16:17], v[14:15]
	v_fma_f64 v[30:31], -v[14:15], v[16:17], 1.0
	v_fmac_f64_e32 v[16:17], v[16:17], v[30:31]
	v_fma_f64 v[30:31], -v[14:15], v[16:17], 1.0
	v_fmac_f64_e32 v[16:17], v[16:17], v[30:31]
	v_div_scale_f64 v[30:31], vcc, v[6:7], v[8:9], v[6:7]
	v_mul_f64 v[32:33], v[30:31], v[16:17]
	v_fma_f64 v[14:15], -v[14:15], v[32:33], v[30:31]
	s_waitcnt vmcnt(8)
	v_div_scale_f64 v[30:31], s[4:5], v[12:13], v[12:13], v[10:11]
	v_rcp_f64_e32 v[34:35], v[30:31]
	v_div_fmas_f64 v[14:15], v[14:15], v[16:17], v[32:33]
	v_div_fixup_f64 v[6:7], v[14:15], v[8:9], v[6:7]
	v_fma_f64 v[8:9], -v[30:31], v[34:35], 1.0
	v_fmac_f64_e32 v[34:35], v[34:35], v[8:9]
	v_fma_f64 v[8:9], -v[30:31], v[34:35], 1.0
	v_fmac_f64_e32 v[34:35], v[34:35], v[8:9]
	v_div_scale_f64 v[8:9], vcc, v[10:11], v[12:13], v[10:11]
	v_mul_f64 v[14:15], v[8:9], v[34:35]
	v_fma_f64 v[8:9], -v[30:31], v[14:15], v[8:9]
	s_waitcnt vmcnt(1)
	v_mul_f64 v[4:5], v[6:7], -v[4:5]
	v_div_fmas_f64 v[8:9], v[8:9], v[34:35], v[14:15]
	v_div_fixup_f64 v[8:9], v[8:9], v[12:13], v[10:11]
	v_fma_f64 v[10:11], -v[6:7], v[20:21], v[18:19]
	v_mov_b32_e32 v13, s11
	v_add_co_u32_e32 v12, vcc, s10, v0
	v_fma_f64 v[10:11], -v[8:9], v[24:25], v[10:11]
	v_addc_co_u32_e32 v13, vcc, v13, v1, vcc
	global_store_dwordx2 v[12:13], v[10:11], off
	v_mov_b32_e32 v13, s3
	v_add_co_u32_e32 v12, vcc, s2, v0
	v_addc_co_u32_e32 v13, vcc, v13, v1, vcc
	v_fma_f64 v[10:11], -v[6:7], v[26:27], v[22:23]
	v_mov_b32_e32 v7, s9
	v_add_co_u32_e32 v6, vcc, s8, v0
	v_addc_co_u32_e32 v7, vcc, v7, v1, vcc
	global_store_dwordx2 v[6:7], v[4:5], off
	v_mov_b32_e32 v4, s1
	v_add_co_u32_e32 v0, vcc, s0, v0
	v_fma_f64 v[10:11], -v[28:29], v[8:9], v[10:11]
	s_waitcnt vmcnt(2)
	v_mul_f64 v[2:3], v[8:9], -v[2:3]
	v_addc_co_u32_e32 v1, vcc, v4, v1, vcc
	global_store_dwordx2 v[12:13], v[10:11], off
	global_store_dwordx2 v[0:1], v[2:3], off
	s_endpgm
	.section	.rodata,"a",@progbits
	.p2align	6, 0x0
	.amdhsa_kernel _ZN9rocsparseL49gtsv_nopivot_strided_batch_pcr_pow2_stage1_kernelILj256EdEEviiiiPKT0_S3_S3_S3_PS1_S4_S4_S4_
		.amdhsa_group_segment_fixed_size 0
		.amdhsa_private_segment_fixed_size 0
		.amdhsa_kernarg_size 80
		.amdhsa_user_sgpr_count 6
		.amdhsa_user_sgpr_private_segment_buffer 1
		.amdhsa_user_sgpr_dispatch_ptr 0
		.amdhsa_user_sgpr_queue_ptr 0
		.amdhsa_user_sgpr_kernarg_segment_ptr 1
		.amdhsa_user_sgpr_dispatch_id 0
		.amdhsa_user_sgpr_flat_scratch_init 0
		.amdhsa_user_sgpr_kernarg_preload_length 0
		.amdhsa_user_sgpr_kernarg_preload_offset 0
		.amdhsa_user_sgpr_private_segment_size 0
		.amdhsa_uses_dynamic_stack 0
		.amdhsa_system_sgpr_private_segment_wavefront_offset 0
		.amdhsa_system_sgpr_workgroup_id_x 1
		.amdhsa_system_sgpr_workgroup_id_y 1
		.amdhsa_system_sgpr_workgroup_id_z 0
		.amdhsa_system_sgpr_workgroup_info 0
		.amdhsa_system_vgpr_workitem_id 0
		.amdhsa_next_free_vgpr 36
		.amdhsa_next_free_sgpr 27
		.amdhsa_accum_offset 36
		.amdhsa_reserve_vcc 1
		.amdhsa_reserve_flat_scratch 0
		.amdhsa_float_round_mode_32 0
		.amdhsa_float_round_mode_16_64 0
		.amdhsa_float_denorm_mode_32 3
		.amdhsa_float_denorm_mode_16_64 3
		.amdhsa_dx10_clamp 1
		.amdhsa_ieee_mode 1
		.amdhsa_fp16_overflow 0
		.amdhsa_tg_split 0
		.amdhsa_exception_fp_ieee_invalid_op 0
		.amdhsa_exception_fp_denorm_src 0
		.amdhsa_exception_fp_ieee_div_zero 0
		.amdhsa_exception_fp_ieee_overflow 0
		.amdhsa_exception_fp_ieee_underflow 0
		.amdhsa_exception_fp_ieee_inexact 0
		.amdhsa_exception_int_div_zero 0
	.end_amdhsa_kernel
	.section	.text._ZN9rocsparseL49gtsv_nopivot_strided_batch_pcr_pow2_stage1_kernelILj256EdEEviiiiPKT0_S3_S3_S3_PS1_S4_S4_S4_,"axG",@progbits,_ZN9rocsparseL49gtsv_nopivot_strided_batch_pcr_pow2_stage1_kernelILj256EdEEviiiiPKT0_S3_S3_S3_PS1_S4_S4_S4_,comdat
.Lfunc_end38:
	.size	_ZN9rocsparseL49gtsv_nopivot_strided_batch_pcr_pow2_stage1_kernelILj256EdEEviiiiPKT0_S3_S3_S3_PS1_S4_S4_S4_, .Lfunc_end38-_ZN9rocsparseL49gtsv_nopivot_strided_batch_pcr_pow2_stage1_kernelILj256EdEEviiiiPKT0_S3_S3_S3_PS1_S4_S4_S4_
                                        ; -- End function
	.section	.AMDGPU.csdata,"",@progbits
; Kernel info:
; codeLenInByte = 740
; NumSgprs: 31
; NumVgprs: 36
; NumAgprs: 0
; TotalNumVgprs: 36
; ScratchSize: 0
; MemoryBound: 0
; FloatMode: 240
; IeeeMode: 1
; LDSByteSize: 0 bytes/workgroup (compile time only)
; SGPRBlocks: 3
; VGPRBlocks: 4
; NumSGPRsForWavesPerEU: 31
; NumVGPRsForWavesPerEU: 36
; AccumOffset: 36
; Occupancy: 8
; WaveLimiterHint : 0
; COMPUTE_PGM_RSRC2:SCRATCH_EN: 0
; COMPUTE_PGM_RSRC2:USER_SGPR: 6
; COMPUTE_PGM_RSRC2:TRAP_HANDLER: 0
; COMPUTE_PGM_RSRC2:TGID_X_EN: 1
; COMPUTE_PGM_RSRC2:TGID_Y_EN: 1
; COMPUTE_PGM_RSRC2:TGID_Z_EN: 0
; COMPUTE_PGM_RSRC2:TIDIG_COMP_CNT: 0
; COMPUTE_PGM_RSRC3_GFX90A:ACCUM_OFFSET: 8
; COMPUTE_PGM_RSRC3_GFX90A:TG_SPLIT: 0
	.section	.text._ZN9rocsparseL48gtsv_nopivot_strided_batch_cr_pow2_stage2_kernelILj256EdEEviiiPKT0_S3_S3_S3_PS1_,"axG",@progbits,_ZN9rocsparseL48gtsv_nopivot_strided_batch_cr_pow2_stage2_kernelILj256EdEEviiiPKT0_S3_S3_S3_PS1_,comdat
	.globl	_ZN9rocsparseL48gtsv_nopivot_strided_batch_cr_pow2_stage2_kernelILj256EdEEviiiPKT0_S3_S3_S3_PS1_ ; -- Begin function _ZN9rocsparseL48gtsv_nopivot_strided_batch_cr_pow2_stage2_kernelILj256EdEEviiiPKT0_S3_S3_S3_PS1_
	.p2align	8
	.type	_ZN9rocsparseL48gtsv_nopivot_strided_batch_cr_pow2_stage2_kernelILj256EdEEviiiPKT0_S3_S3_S3_PS1_,@function
_ZN9rocsparseL48gtsv_nopivot_strided_batch_cr_pow2_stage2_kernelILj256EdEEviiiPKT0_S3_S3_S3_PS1_: ; @_ZN9rocsparseL48gtsv_nopivot_strided_batch_cr_pow2_stage2_kernelILj256EdEEviiiPKT0_S3_S3_S3_PS1_
; %bb.0:
	s_load_dword s0, s[4:5], 0x38
	s_load_dword s1, s[4:5], 0x0
	s_load_dwordx8 s[8:15], s[4:5], 0x10
	v_mov_b32_e32 v3, 0
	s_movk_i32 s2, 0x100
	s_waitcnt lgkmcnt(0)
	v_mul_lo_u32 v1, s0, v0
	v_add_u32_e32 v4, s6, v1
	s_mul_i32 s1, s7, s1
	v_add_u32_e32 v2, s1, v4
	v_lshlrev_b64 v[6:7], 3, v[2:3]
	v_mov_b32_e32 v1, s9
	v_add_co_u32_e32 v8, vcc, s8, v6
	v_addc_co_u32_e32 v9, vcc, v1, v7, vcc
	v_mov_b32_e32 v17, s11
	v_add_co_u32_e32 v10, vcc, s10, v6
	v_addc_co_u32_e32 v11, vcc, v17, v7, vcc
	;; [unrolled: 3-line block ×3, first 2 shown]
	v_lshl_add_u32 v5, s0, 8, v4
	v_mov_b32_e32 v20, s15
	v_add_co_u32_e32 v6, vcc, s14, v6
	v_add_u32_e32 v2, s1, v5
	v_addc_co_u32_e32 v7, vcc, v20, v7, vcc
	v_lshlrev_b64 v[2:3], 3, v[2:3]
	v_add_co_u32_e32 v14, vcc, s8, v2
	v_addc_co_u32_e32 v15, vcc, v1, v3, vcc
	v_add_co_u32_e32 v16, vcc, s10, v2
	v_addc_co_u32_e32 v17, vcc, v17, v3, vcc
	v_add_co_u32_e32 v18, vcc, s12, v2
	global_load_dwordx2 v[8:9], v[8:9], off
	v_addc_co_u32_e32 v19, vcc, v19, v3, vcc
	global_load_dwordx2 v[14:15], v[14:15], off
	v_add_co_u32_e32 v2, vcc, s14, v2
	global_load_dwordx2 v[10:11], v[10:11], off
	v_addc_co_u32_e32 v3, vcc, v20, v3, vcc
	global_load_dwordx2 v[16:17], v[16:17], off
	s_mov_b32 s0, 0
	global_load_dwordx2 v[12:13], v[12:13], off
	s_mov_b32 s1, s0
	global_load_dwordx2 v[18:19], v[18:19], off
	v_lshlrev_b32_e32 v1, 3, v0
	global_load_dwordx2 v[6:7], v[6:7], off
	v_pk_mov_b32 v[22:23], s[0:1], s[0:1] op_sel:[0,1]
	global_load_dwordx2 v[20:21], v[2:3], off
	v_add_u32_e32 v2, 1, v0
	v_cmp_gt_u32_e64 s[0:1], s2, v0
	ds_write2st64_b64 v1, v[22:23], v[22:23] offset0:24 offset1:28
	s_waitcnt vmcnt(6)
	ds_write2st64_b64 v1, v[8:9], v[14:15] offset1:4
	s_waitcnt vmcnt(4)
	ds_write2st64_b64 v1, v[10:11], v[16:17] offset0:8 offset1:12
	s_waitcnt vmcnt(2)
	ds_write2st64_b64 v1, v[12:13], v[18:19] offset0:16 offset1:20
	;; [unrolled: 2-line block ×3, first 2 shown]
	s_waitcnt lgkmcnt(0)
	s_barrier
	s_and_saveexec_b64 s[2:3], s[0:1]
	s_cbranch_execz .LBB39_2
; %bb.1:
	v_lshlrev_b32_e32 v3, 4, v2
	v_add_u32_e32 v6, -16, v3
	ds_read_b128 v[6:9], v6
	ds_read_b128 v[10:13], v3 offset:4080
	ds_read_b128 v[14:17], v3 offset:8176
	;; [unrolled: 1-line block ×3, first 2 shown]
	v_lshlrev_b32_e32 v22, 1, v2
	v_min_u32_e32 v24, 0x1ff, v22
	s_waitcnt lgkmcnt(2)
	v_div_scale_f64 v[26:27], s[8:9], v[10:11], v[10:11], v[8:9]
	v_rcp_f64_e32 v[28:29], v[26:27]
	v_lshlrev_b32_e32 v37, 3, v24
	v_div_scale_f64 v[30:31], vcc, v[8:9], v[10:11], v[8:9]
	v_fma_f64 v[22:23], -v[26:27], v[28:29], 1.0
	v_fmac_f64_e32 v[28:29], v[28:29], v[22:23]
	v_fma_f64 v[22:23], -v[26:27], v[28:29], 1.0
	v_fmac_f64_e32 v[28:29], v[28:29], v[22:23]
	ds_read2st64_b64 v[22:25], v37 offset1:8
	v_mul_f64 v[32:33], v[30:31], v[28:29]
	v_fma_f64 v[26:27], -v[26:27], v[32:33], v[30:31]
	v_div_fmas_f64 v[26:27], v[26:27], v[28:29], v[32:33]
	v_div_fixup_f64 v[26:27], v[26:27], v[10:11], v[8:9]
	s_waitcnt lgkmcnt(0)
	v_div_scale_f64 v[30:31], s[8:9], v[24:25], v[24:25], v[16:17]
	v_rcp_f64_e32 v[34:35], v[30:31]
	v_fma_f64 v[12:13], -v[26:27], v[14:15], v[12:13]
	v_fma_f64 v[14:15], -v[26:27], v[18:19], v[20:21]
	v_add_u32_e32 v36, -8, v3
	v_fma_f64 v[8:9], -v[30:31], v[34:35], 1.0
	v_fmac_f64_e32 v[34:35], v[34:35], v[8:9]
	v_fma_f64 v[8:9], -v[30:31], v[34:35], 1.0
	v_fmac_f64_e32 v[34:35], v[34:35], v[8:9]
	v_div_scale_f64 v[8:9], vcc, v[16:17], v[24:25], v[16:17]
	v_mul_f64 v[10:11], v[8:9], v[34:35]
	v_fma_f64 v[8:9], -v[30:31], v[10:11], v[8:9]
	v_mul_f64 v[6:7], v[26:27], -v[6:7]
	s_nop 0
	v_div_fmas_f64 v[28:29], v[8:9], v[34:35], v[10:11]
	ds_read2st64_b64 v[8:11], v37 offset0:16 offset1:32
	v_div_fixup_f64 v[16:17], v[28:29], v[24:25], v[16:17]
	v_fma_f64 v[12:13], -v[16:17], v[22:23], v[12:13]
	ds_write_b64 v36, v[6:7]
	s_waitcnt lgkmcnt(1)
	v_fma_f64 v[10:11], -v[16:17], v[10:11], v[14:15]
	ds_write_b64 v3, v[10:11] offset:16376
	v_mul_f64 v[6:7], v[16:17], -v[8:9]
	v_add_u32_e32 v3, 0x1f8, v3
	ds_write2st64_b64 v3, v[12:13], v[6:7] offset0:7 offset1:15
.LBB39_2:
	s_or_b64 exec, exec, s[2:3]
	s_movk_i32 s2, 0x80
	v_cmp_gt_u32_e64 s[2:3], s2, v0
	s_waitcnt lgkmcnt(0)
	s_barrier
	s_and_saveexec_b64 s[8:9], s[2:3]
	s_cbranch_execz .LBB39_4
; %bb.3:
	v_lshlrev_b32_e32 v3, 5, v2
	v_add_u32_e32 v6, 0x800, v3
	v_add_u32_e32 v32, -8, v3
	ds_read2_b64 v[6:9], v6 offset0:253 offset1:255
	ds_read_b64 v[18:19], v32
	v_subrev_u32_e32 v10, 24, v3
	ds_read_b64 v[26:27], v10
	v_lshl_or_b32 v10, v2, 2, 1
	v_min_u32_e32 v14, 0x1ff, v10
	s_waitcnt lgkmcnt(1)
	v_div_scale_f64 v[20:21], s[10:11], v[6:7], v[6:7], v[18:19]
	v_rcp_f64_e32 v[22:23], v[20:21]
	v_lshlrev_b32_e32 v33, 3, v14
	ds_read2st64_b64 v[14:17], v33 offset1:8
	v_div_scale_f64 v[24:25], vcc, v[18:19], v[6:7], v[18:19]
	v_fma_f64 v[10:11], -v[20:21], v[22:23], 1.0
	v_fmac_f64_e32 v[22:23], v[22:23], v[10:11]
	v_fma_f64 v[10:11], -v[20:21], v[22:23], 1.0
	v_fmac_f64_e32 v[22:23], v[22:23], v[10:11]
	v_add_u32_e32 v10, 0x1800, v3
	ds_read2_b64 v[10:13], v10 offset0:253 offset1:255
	v_mul_f64 v[28:29], v[24:25], v[22:23]
	v_fma_f64 v[20:21], -v[20:21], v[28:29], v[24:25]
	v_div_fmas_f64 v[20:21], v[20:21], v[22:23], v[28:29]
	v_div_fixup_f64 v[6:7], v[20:21], v[6:7], v[18:19]
	s_waitcnt lgkmcnt(0)
	v_div_scale_f64 v[24:25], s[10:11], v[16:17], v[16:17], v[12:13]
	v_rcp_f64_e32 v[30:31], v[24:25]
	v_fma_f64 v[8:9], -v[6:7], v[10:11], v[8:9]
	v_fma_f64 v[18:19], -v[24:25], v[30:31], 1.0
	v_fmac_f64_e32 v[30:31], v[30:31], v[18:19]
	v_fma_f64 v[18:19], -v[24:25], v[30:31], 1.0
	v_fmac_f64_e32 v[30:31], v[30:31], v[18:19]
	v_div_scale_f64 v[18:19], vcc, v[12:13], v[16:17], v[12:13]
	v_mul_f64 v[20:21], v[18:19], v[30:31]
	v_fma_f64 v[18:19], -v[24:25], v[20:21], v[18:19]
	s_nop 1
	v_div_fmas_f64 v[28:29], v[18:19], v[30:31], v[20:21]
	v_add_u32_e32 v18, 0x3800, v3
	ds_read2_b64 v[18:21], v18 offset0:253 offset1:255
	ds_read2st64_b64 v[22:25], v33 offset0:16 offset1:32
	v_div_fixup_f64 v[12:13], v[28:29], v[16:17], v[12:13]
	v_fma_f64 v[8:9], -v[12:13], v[14:15], v[8:9]
	s_waitcnt lgkmcnt(1)
	v_fma_f64 v[10:11], -v[6:7], v[18:19], v[20:21]
	s_waitcnt lgkmcnt(0)
	v_fma_f64 v[10:11], -v[12:13], v[24:25], v[10:11]
	v_mul_f64 v[6:7], v[6:7], -v[26:27]
	ds_write_b64 v3, v[10:11] offset:16376
	ds_write_b64 v32, v[6:7]
	v_mul_f64 v[6:7], v[12:13], -v[22:23]
	v_add_u32_e32 v3, 0x1f8, v3
	ds_write2st64_b64 v3, v[8:9], v[6:7] offset0:7 offset1:15
.LBB39_4:
	s_or_b64 exec, exec, s[8:9]
	v_cmp_gt_u32_e64 s[20:21], 64, v0
	s_waitcnt lgkmcnt(0)
	s_barrier
	s_and_saveexec_b64 s[8:9], s[20:21]
	s_cbranch_execz .LBB39_6
; %bb.5:
	v_lshlrev_b32_e32 v3, 6, v2
	v_add_u32_e32 v6, 0x800, v3
	v_add_u32_e32 v32, -8, v3
	ds_read2_b64 v[6:9], v6 offset0:251 offset1:255
	ds_read_b64 v[18:19], v32
	v_subrev_u32_e32 v10, 40, v3
	ds_read_b64 v[26:27], v10
	v_lshl_or_b32 v10, v2, 3, 3
	v_min_u32_e32 v14, 0x1ff, v10
	s_waitcnt lgkmcnt(1)
	v_div_scale_f64 v[20:21], s[10:11], v[6:7], v[6:7], v[18:19]
	v_rcp_f64_e32 v[22:23], v[20:21]
	v_lshlrev_b32_e32 v33, 3, v14
	ds_read2st64_b64 v[14:17], v33 offset1:8
	v_div_scale_f64 v[24:25], vcc, v[18:19], v[6:7], v[18:19]
	v_fma_f64 v[10:11], -v[20:21], v[22:23], 1.0
	v_fmac_f64_e32 v[22:23], v[22:23], v[10:11]
	v_fma_f64 v[10:11], -v[20:21], v[22:23], 1.0
	v_fmac_f64_e32 v[22:23], v[22:23], v[10:11]
	v_add_u32_e32 v10, 0x1800, v3
	ds_read2_b64 v[10:13], v10 offset0:251 offset1:255
	v_mul_f64 v[28:29], v[24:25], v[22:23]
	v_fma_f64 v[20:21], -v[20:21], v[28:29], v[24:25]
	v_div_fmas_f64 v[20:21], v[20:21], v[22:23], v[28:29]
	v_div_fixup_f64 v[6:7], v[20:21], v[6:7], v[18:19]
	s_waitcnt lgkmcnt(0)
	v_div_scale_f64 v[24:25], s[10:11], v[16:17], v[16:17], v[12:13]
	v_rcp_f64_e32 v[30:31], v[24:25]
	v_fma_f64 v[8:9], -v[6:7], v[10:11], v[8:9]
	v_fma_f64 v[18:19], -v[24:25], v[30:31], 1.0
	v_fmac_f64_e32 v[30:31], v[30:31], v[18:19]
	v_fma_f64 v[18:19], -v[24:25], v[30:31], 1.0
	v_fmac_f64_e32 v[30:31], v[30:31], v[18:19]
	v_div_scale_f64 v[18:19], vcc, v[12:13], v[16:17], v[12:13]
	v_mul_f64 v[20:21], v[18:19], v[30:31]
	v_fma_f64 v[18:19], -v[24:25], v[20:21], v[18:19]
	s_nop 1
	v_div_fmas_f64 v[28:29], v[18:19], v[30:31], v[20:21]
	v_add_u32_e32 v18, 0x3800, v3
	ds_read2_b64 v[18:21], v18 offset0:251 offset1:255
	ds_read2st64_b64 v[22:25], v33 offset0:16 offset1:32
	v_div_fixup_f64 v[12:13], v[28:29], v[16:17], v[12:13]
	v_fma_f64 v[8:9], -v[12:13], v[14:15], v[8:9]
	s_waitcnt lgkmcnt(1)
	v_fma_f64 v[10:11], -v[6:7], v[18:19], v[20:21]
	s_waitcnt lgkmcnt(0)
	v_fma_f64 v[10:11], -v[12:13], v[24:25], v[10:11]
	v_mul_f64 v[6:7], v[6:7], -v[26:27]
	ds_write_b64 v3, v[10:11] offset:16376
	ds_write_b64 v32, v[6:7]
	v_mul_f64 v[6:7], v[12:13], -v[22:23]
	v_add_u32_e32 v3, 0x1f8, v3
	ds_write2st64_b64 v3, v[8:9], v[6:7] offset0:7 offset1:15
.LBB39_6:
	s_or_b64 exec, exec, s[8:9]
	v_cmp_gt_u32_e64 s[8:9], 32, v0
	s_waitcnt lgkmcnt(0)
	s_barrier
	s_and_saveexec_b64 s[10:11], s[8:9]
	s_cbranch_execz .LBB39_8
; %bb.7:
	v_lshlrev_b32_e32 v3, 7, v2
	v_add_u32_e32 v6, 0x800, v3
	v_add_u32_e32 v32, -8, v3
	ds_read2_b64 v[6:9], v6 offset0:247 offset1:255
	ds_read_b64 v[18:19], v32
	v_add_u32_e32 v10, 0xffffffb8, v3
	ds_read_b64 v[26:27], v10
	v_lshl_or_b32 v10, v2, 4, 7
	v_min_u32_e32 v14, 0x1ff, v10
	s_waitcnt lgkmcnt(1)
	v_div_scale_f64 v[20:21], s[12:13], v[6:7], v[6:7], v[18:19]
	v_rcp_f64_e32 v[22:23], v[20:21]
	v_lshlrev_b32_e32 v33, 3, v14
	ds_read2st64_b64 v[14:17], v33 offset1:8
	v_div_scale_f64 v[24:25], vcc, v[18:19], v[6:7], v[18:19]
	v_fma_f64 v[10:11], -v[20:21], v[22:23], 1.0
	v_fmac_f64_e32 v[22:23], v[22:23], v[10:11]
	v_fma_f64 v[10:11], -v[20:21], v[22:23], 1.0
	v_fmac_f64_e32 v[22:23], v[22:23], v[10:11]
	v_add_u32_e32 v10, 0x1800, v3
	ds_read2_b64 v[10:13], v10 offset0:247 offset1:255
	v_mul_f64 v[28:29], v[24:25], v[22:23]
	v_fma_f64 v[20:21], -v[20:21], v[28:29], v[24:25]
	v_div_fmas_f64 v[20:21], v[20:21], v[22:23], v[28:29]
	v_div_fixup_f64 v[6:7], v[20:21], v[6:7], v[18:19]
	s_waitcnt lgkmcnt(0)
	v_div_scale_f64 v[24:25], s[12:13], v[16:17], v[16:17], v[12:13]
	v_rcp_f64_e32 v[30:31], v[24:25]
	v_fma_f64 v[8:9], -v[6:7], v[10:11], v[8:9]
	v_fma_f64 v[18:19], -v[24:25], v[30:31], 1.0
	v_fmac_f64_e32 v[30:31], v[30:31], v[18:19]
	v_fma_f64 v[18:19], -v[24:25], v[30:31], 1.0
	v_fmac_f64_e32 v[30:31], v[30:31], v[18:19]
	v_div_scale_f64 v[18:19], vcc, v[12:13], v[16:17], v[12:13]
	v_mul_f64 v[20:21], v[18:19], v[30:31]
	v_fma_f64 v[18:19], -v[24:25], v[20:21], v[18:19]
	s_nop 1
	v_div_fmas_f64 v[28:29], v[18:19], v[30:31], v[20:21]
	v_add_u32_e32 v18, 0x3800, v3
	ds_read2_b64 v[18:21], v18 offset0:247 offset1:255
	ds_read2st64_b64 v[22:25], v33 offset0:16 offset1:32
	v_div_fixup_f64 v[12:13], v[28:29], v[16:17], v[12:13]
	v_fma_f64 v[8:9], -v[12:13], v[14:15], v[8:9]
	s_waitcnt lgkmcnt(1)
	v_fma_f64 v[10:11], -v[6:7], v[18:19], v[20:21]
	s_waitcnt lgkmcnt(0)
	v_fma_f64 v[10:11], -v[12:13], v[24:25], v[10:11]
	v_mul_f64 v[6:7], v[6:7], -v[26:27]
	ds_write_b64 v3, v[10:11] offset:16376
	ds_write_b64 v32, v[6:7]
	v_mul_f64 v[6:7], v[12:13], -v[22:23]
	v_add_u32_e32 v3, 0x1f8, v3
	ds_write2st64_b64 v3, v[8:9], v[6:7] offset0:7 offset1:15
.LBB39_8:
	s_or_b64 exec, exec, s[10:11]
	v_cmp_gt_u32_e64 s[10:11], 16, v0
	s_waitcnt lgkmcnt(0)
	s_barrier
	s_and_saveexec_b64 s[12:13], s[10:11]
	s_cbranch_execz .LBB39_10
; %bb.9:
	v_lshlrev_b32_e32 v3, 8, v2
	v_add_u32_e32 v6, 0x800, v3
	v_add_u32_e32 v32, -8, v3
	ds_read2_b64 v[6:9], v6 offset0:239 offset1:255
	ds_read_b64 v[18:19], v32
	v_add_u32_e32 v10, 0xffffff78, v3
	ds_read_b64 v[26:27], v10
	v_lshl_or_b32 v10, v2, 5, 15
	v_min_u32_e32 v14, 0x1ff, v10
	s_waitcnt lgkmcnt(1)
	v_div_scale_f64 v[20:21], s[14:15], v[6:7], v[6:7], v[18:19]
	v_rcp_f64_e32 v[22:23], v[20:21]
	v_lshlrev_b32_e32 v33, 3, v14
	ds_read2st64_b64 v[14:17], v33 offset1:8
	v_div_scale_f64 v[24:25], vcc, v[18:19], v[6:7], v[18:19]
	v_fma_f64 v[10:11], -v[20:21], v[22:23], 1.0
	v_fmac_f64_e32 v[22:23], v[22:23], v[10:11]
	v_fma_f64 v[10:11], -v[20:21], v[22:23], 1.0
	v_fmac_f64_e32 v[22:23], v[22:23], v[10:11]
	v_add_u32_e32 v10, 0x1800, v3
	ds_read2_b64 v[10:13], v10 offset0:239 offset1:255
	v_mul_f64 v[28:29], v[24:25], v[22:23]
	v_fma_f64 v[20:21], -v[20:21], v[28:29], v[24:25]
	v_div_fmas_f64 v[20:21], v[20:21], v[22:23], v[28:29]
	v_div_fixup_f64 v[6:7], v[20:21], v[6:7], v[18:19]
	s_waitcnt lgkmcnt(0)
	v_div_scale_f64 v[24:25], s[14:15], v[16:17], v[16:17], v[12:13]
	v_rcp_f64_e32 v[30:31], v[24:25]
	v_fma_f64 v[8:9], -v[6:7], v[10:11], v[8:9]
	v_fma_f64 v[18:19], -v[24:25], v[30:31], 1.0
	v_fmac_f64_e32 v[30:31], v[30:31], v[18:19]
	v_fma_f64 v[18:19], -v[24:25], v[30:31], 1.0
	v_fmac_f64_e32 v[30:31], v[30:31], v[18:19]
	v_div_scale_f64 v[18:19], vcc, v[12:13], v[16:17], v[12:13]
	v_mul_f64 v[20:21], v[18:19], v[30:31]
	v_fma_f64 v[18:19], -v[24:25], v[20:21], v[18:19]
	s_nop 1
	v_div_fmas_f64 v[28:29], v[18:19], v[30:31], v[20:21]
	v_add_u32_e32 v18, 0x3800, v3
	ds_read2_b64 v[18:21], v18 offset0:239 offset1:255
	ds_read2st64_b64 v[22:25], v33 offset0:16 offset1:32
	v_div_fixup_f64 v[12:13], v[28:29], v[16:17], v[12:13]
	v_fma_f64 v[8:9], -v[12:13], v[14:15], v[8:9]
	s_waitcnt lgkmcnt(1)
	v_fma_f64 v[10:11], -v[6:7], v[18:19], v[20:21]
	s_waitcnt lgkmcnt(0)
	v_fma_f64 v[10:11], -v[12:13], v[24:25], v[10:11]
	v_mul_f64 v[6:7], v[6:7], -v[26:27]
	ds_write_b64 v3, v[10:11] offset:16376
	ds_write_b64 v32, v[6:7]
	v_mul_f64 v[6:7], v[12:13], -v[22:23]
	v_add_u32_e32 v3, 0x1f8, v3
	ds_write2st64_b64 v3, v[8:9], v[6:7] offset0:7 offset1:15
.LBB39_10:
	;; [unrolled: 61-line block ×3, first 2 shown]
	s_or_b64 exec, exec, s[12:13]
	v_cmp_gt_u32_e64 s[16:17], 4, v0
	s_waitcnt lgkmcnt(0)
	s_barrier
	s_and_saveexec_b64 s[12:13], s[16:17]
	s_cbranch_execz .LBB39_14
; %bb.13:
	v_lshlrev_b32_e32 v3, 10, v2
	v_add_u32_e32 v32, -8, v3
	v_add_u32_e32 v33, 0x1f8, v3
	ds_read_b64 v[18:19], v32
	ds_read2st64_b64 v[6:9], v33 offset0:6 offset1:7
	v_add_u32_e32 v14, 0xfffffdf8, v3
	ds_read2st64_b64 v[10:13], v33 offset0:14 offset1:15
	ds_read_b64 v[26:27], v14
	v_lshl_or_b32 v14, v2, 7, 63
	v_min_u32_e32 v16, 0x1ff, v14
	s_waitcnt lgkmcnt(2)
	v_div_scale_f64 v[20:21], s[18:19], v[6:7], v[6:7], v[18:19]
	v_rcp_f64_e32 v[22:23], v[20:21]
	v_lshlrev_b32_e32 v34, 3, v16
	v_div_scale_f64 v[24:25], vcc, v[18:19], v[6:7], v[18:19]
	v_fma_f64 v[14:15], -v[20:21], v[22:23], 1.0
	v_fmac_f64_e32 v[22:23], v[22:23], v[14:15]
	v_fma_f64 v[14:15], -v[20:21], v[22:23], 1.0
	v_fmac_f64_e32 v[22:23], v[22:23], v[14:15]
	ds_read2st64_b64 v[14:17], v34 offset1:8
	v_mul_f64 v[28:29], v[24:25], v[22:23]
	v_fma_f64 v[20:21], -v[20:21], v[28:29], v[24:25]
	v_div_fmas_f64 v[20:21], v[20:21], v[22:23], v[28:29]
	v_div_fixup_f64 v[6:7], v[20:21], v[6:7], v[18:19]
	s_waitcnt lgkmcnt(0)
	v_div_scale_f64 v[24:25], s[18:19], v[16:17], v[16:17], v[12:13]
	v_rcp_f64_e32 v[30:31], v[24:25]
	v_fma_f64 v[8:9], -v[6:7], v[10:11], v[8:9]
	v_fma_f64 v[18:19], -v[24:25], v[30:31], 1.0
	v_fmac_f64_e32 v[30:31], v[30:31], v[18:19]
	v_fma_f64 v[18:19], -v[24:25], v[30:31], 1.0
	v_fmac_f64_e32 v[30:31], v[30:31], v[18:19]
	v_div_scale_f64 v[18:19], vcc, v[12:13], v[16:17], v[12:13]
	v_mul_f64 v[20:21], v[18:19], v[30:31]
	v_fma_f64 v[18:19], -v[24:25], v[20:21], v[18:19]
	s_nop 1
	v_div_fmas_f64 v[28:29], v[18:19], v[30:31], v[20:21]
	ds_read2st64_b64 v[18:21], v33 offset0:30 offset1:31
	ds_read2st64_b64 v[22:25], v34 offset0:16 offset1:32
	v_div_fixup_f64 v[12:13], v[28:29], v[16:17], v[12:13]
	v_fma_f64 v[8:9], -v[12:13], v[14:15], v[8:9]
	s_waitcnt lgkmcnt(1)
	v_fma_f64 v[10:11], -v[6:7], v[18:19], v[20:21]
	v_mul_f64 v[6:7], v[6:7], -v[26:27]
	s_waitcnt lgkmcnt(0)
	v_fma_f64 v[10:11], -v[12:13], v[24:25], v[10:11]
	ds_write_b64 v32, v[6:7]
	v_mul_f64 v[6:7], v[12:13], -v[22:23]
	ds_write_b64 v3, v[10:11] offset:16376
	ds_write2st64_b64 v33, v[8:9], v[6:7] offset0:7 offset1:15
.LBB39_14:
	s_or_b64 exec, exec, s[12:13]
	v_cmp_gt_u32_e64 s[18:19], 2, v0
	s_waitcnt lgkmcnt(0)
	s_barrier
	s_and_saveexec_b64 s[12:13], s[18:19]
	s_cbranch_execz .LBB39_16
; %bb.15:
	v_lshlrev_b32_e32 v30, 11, v2
	v_add_u32_e32 v32, 0x1f8, v30
	v_add_u32_e32 v31, -8, v30
	ds_read2st64_b64 v[6:9], v32 offset0:5 offset1:7
	ds_read_b64 v[18:19], v31
	v_add_u32_e32 v3, 0xfffffbf8, v30
	ds_read_b64 v[26:27], v3
	v_mov_b32_e32 v3, 0x7f
	v_lshl_or_b32 v2, v2, 8, v3
	s_waitcnt lgkmcnt(1)
	v_div_scale_f64 v[20:21], s[22:23], v[6:7], v[6:7], v[18:19]
	v_rcp_f64_e32 v[22:23], v[20:21]
	v_min_u32_e32 v14, 0x1ff, v2
	v_lshlrev_b32_e32 v33, 3, v14
	ds_read2st64_b64 v[10:13], v32 offset0:13 offset1:15
	v_fma_f64 v[2:3], -v[20:21], v[22:23], 1.0
	ds_read2st64_b64 v[14:17], v33 offset1:8
	v_fmac_f64_e32 v[22:23], v[22:23], v[2:3]
	v_fma_f64 v[2:3], -v[20:21], v[22:23], 1.0
	v_fmac_f64_e32 v[22:23], v[22:23], v[2:3]
	v_div_scale_f64 v[2:3], vcc, v[18:19], v[6:7], v[18:19]
	v_mul_f64 v[24:25], v[2:3], v[22:23]
	v_fma_f64 v[2:3], -v[20:21], v[24:25], v[2:3]
	s_waitcnt lgkmcnt(0)
	v_div_scale_f64 v[20:21], s[22:23], v[16:17], v[16:17], v[12:13]
	v_rcp_f64_e32 v[28:29], v[20:21]
	v_div_fmas_f64 v[2:3], v[2:3], v[22:23], v[24:25]
	v_div_fixup_f64 v[2:3], v[2:3], v[6:7], v[18:19]
	v_fma_f64 v[8:9], -v[2:3], v[10:11], v[8:9]
	v_fma_f64 v[6:7], -v[20:21], v[28:29], 1.0
	v_fmac_f64_e32 v[28:29], v[28:29], v[6:7]
	v_fma_f64 v[6:7], -v[20:21], v[28:29], 1.0
	v_fmac_f64_e32 v[28:29], v[28:29], v[6:7]
	v_div_scale_f64 v[6:7], vcc, v[12:13], v[16:17], v[12:13]
	v_mul_f64 v[18:19], v[6:7], v[28:29]
	v_fma_f64 v[6:7], -v[20:21], v[18:19], v[6:7]
	s_nop 1
	v_div_fmas_f64 v[6:7], v[6:7], v[28:29], v[18:19]
	ds_read2st64_b64 v[18:21], v32 offset0:29 offset1:31
	ds_read2st64_b64 v[22:25], v33 offset0:16 offset1:32
	v_div_fixup_f64 v[6:7], v[6:7], v[16:17], v[12:13]
	v_fma_f64 v[8:9], -v[6:7], v[14:15], v[8:9]
	s_waitcnt lgkmcnt(1)
	v_fma_f64 v[10:11], -v[2:3], v[18:19], v[20:21]
	v_mul_f64 v[2:3], v[2:3], -v[26:27]
	s_waitcnt lgkmcnt(0)
	v_fma_f64 v[10:11], -v[6:7], v[24:25], v[10:11]
	ds_write_b64 v31, v[2:3]
	v_mul_f64 v[2:3], v[6:7], -v[22:23]
	ds_write_b64 v30, v[10:11] offset:16376
	ds_write2st64_b64 v32, v[8:9], v[2:3] offset0:7 offset1:15
.LBB39_16:
	s_or_b64 exec, exec, s[12:13]
	v_cmp_ne_u32_e64 s[12:13], 0, v0
	v_cmp_eq_u32_e32 vcc, 0, v0
	s_waitcnt lgkmcnt(0)
	s_barrier
	s_and_saveexec_b64 s[22:23], vcc
	s_cbranch_execz .LBB39_18
; %bb.17:
	s_movk_i32 s6, 0x1f8
	v_add_u32_e64 v26, s6, 0
	ds_read2st64_b64 v[6:9], v26 offset0:15 offset1:19
	ds_read2st64_b64 v[10:13], v26 offset0:7 offset1:11
	;; [unrolled: 1-line block ×3, first 2 shown]
	s_waitcnt lgkmcnt(1)
	v_mul_f64 v[2:3], v[8:9], v[10:11]
	v_fma_f64 v[2:3], v[6:7], v[12:13], -v[2:3]
	v_div_scale_f64 v[18:19], s[24:25], v[2:3], v[2:3], 1.0
	v_rcp_f64_e32 v[20:21], v[18:19]
	v_div_scale_f64 v[22:23], vcc, 1.0, v[2:3], 1.0
	s_waitcnt lgkmcnt(0)
	v_mul_f64 v[8:9], v[8:9], v[16:17]
	v_fma_f64 v[24:25], -v[18:19], v[20:21], 1.0
	v_fmac_f64_e32 v[20:21], v[20:21], v[24:25]
	v_fma_f64 v[24:25], -v[18:19], v[20:21], 1.0
	v_fmac_f64_e32 v[20:21], v[20:21], v[24:25]
	v_mul_f64 v[24:25], v[22:23], v[20:21]
	v_fma_f64 v[18:19], -v[18:19], v[24:25], v[22:23]
	v_div_fmas_f64 v[18:19], v[18:19], v[20:21], v[24:25]
	v_fma_f64 v[6:7], v[6:7], v[14:15], -v[8:9]
	v_mul_f64 v[8:9], v[10:11], v[14:15]
	v_div_fixup_f64 v[2:3], v[18:19], v[2:3], 1.0
	v_fma_f64 v[8:9], v[12:13], v[16:17], -v[8:9]
	v_mul_f64 v[6:7], v[2:3], v[6:7]
	v_mul_f64 v[2:3], v[2:3], v[8:9]
	ds_write2st64_b64 v26, v[6:7], v[2:3] offset0:27 offset1:31
.LBB39_18:
	s_or_b64 exec, exec, s[22:23]
	s_load_dwordx2 s[22:23], s[4:5], 0x30
	s_waitcnt lgkmcnt(0)
	s_barrier
	s_and_saveexec_b64 s[24:25], s[18:19]
	s_cbranch_execz .LBB39_24
; %bb.19:
	v_lshlrev_b32_e32 v2, 8, v0
	v_lshlrev_b32_e32 v6, 3, v2
                                        ; implicit-def: $vgpr2_vgpr3
	s_and_saveexec_b64 s[18:19], s[12:13]
	s_xor_b64 s[18:19], exec, s[18:19]
	s_cbranch_execz .LBB39_21
; %bb.20:
	v_add_u32_e32 v7, 0x1f8, v6
	ds_read_b64 v[2:3], v6 offset:17400
	ds_read2st64_b64 v[8:11], v7 offset0:1 offset1:23
	s_waitcnt lgkmcnt(0)
	v_fma_f64 v[2:3], -v[8:9], v[10:11], v[2:3]
.LBB39_21:
	s_andn2_saveexec_b64 s[18:19], s[18:19]
	s_cbranch_execz .LBB39_23
; %bb.22:
	ds_read_b64 v[2:3], v6 offset:17400
.LBB39_23:
	s_or_b64 exec, exec, s[18:19]
	v_add_u32_e32 v7, 0x1f8, v6
	ds_read_b64 v[12:13], v6 offset:14328
	ds_read2st64_b64 v[8:11], v7 offset0:9 offset1:17
	s_waitcnt lgkmcnt(0)
	v_fma_f64 v[2:3], -v[10:11], v[12:13], v[2:3]
	v_div_scale_f64 v[10:11], s[18:19], v[8:9], v[8:9], v[2:3]
	v_rcp_f64_e32 v[12:13], v[10:11]
	v_div_scale_f64 v[14:15], vcc, v[2:3], v[8:9], v[2:3]
	v_fma_f64 v[16:17], -v[10:11], v[12:13], 1.0
	v_fmac_f64_e32 v[12:13], v[12:13], v[16:17]
	v_fma_f64 v[16:17], -v[10:11], v[12:13], 1.0
	v_fmac_f64_e32 v[12:13], v[12:13], v[16:17]
	v_mul_f64 v[16:17], v[14:15], v[12:13]
	v_fma_f64 v[10:11], -v[10:11], v[16:17], v[14:15]
	v_div_fmas_f64 v[10:11], v[10:11], v[12:13], v[16:17]
	v_div_fixup_f64 v[2:3], v[10:11], v[8:9], v[2:3]
	ds_write_b64 v6, v[2:3] offset:13304
.LBB39_24:
	s_or_b64 exec, exec, s[24:25]
	v_or_b32_e32 v6, 0x3000, v1
	s_waitcnt lgkmcnt(0)
	s_barrier
	s_and_saveexec_b64 s[18:19], s[16:17]
	s_cbranch_execz .LBB39_30
; %bb.25:
	v_lshlrev_b32_e32 v2, 7, v0
	v_lshlrev_b32_e32 v7, 3, v2
                                        ; implicit-def: $vgpr2_vgpr3
	s_and_saveexec_b64 s[16:17], s[12:13]
	s_xor_b64 s[16:17], exec, s[16:17]
	s_cbranch_execz .LBB39_27
; %bb.26:
	v_add_u32_e32 v8, 0x1f8, v7
	ds_read_b64 v[2:3], v7 offset:16888
	ds_read2st64_b64 v[8:11], v8 offset1:23
	s_waitcnt lgkmcnt(0)
	v_fma_f64 v[2:3], -v[8:9], v[10:11], v[2:3]
.LBB39_27:
	s_andn2_saveexec_b64 s[16:17], s[16:17]
	s_cbranch_execz .LBB39_29
; %bb.28:
	ds_read_b64 v[2:3], v7 offset:16888
.LBB39_29:
	s_or_b64 exec, exec, s[16:17]
	v_add_u32_e32 v8, 0x1f8, v7
	ds_read_b64 v[12:13], v7 offset:13304
	ds_read2st64_b64 v[8:11], v8 offset0:8 offset1:16
	s_waitcnt lgkmcnt(0)
	v_fma_f64 v[2:3], -v[10:11], v[12:13], v[2:3]
	v_div_scale_f64 v[10:11], s[16:17], v[8:9], v[8:9], v[2:3]
	v_rcp_f64_e32 v[12:13], v[10:11]
	v_div_scale_f64 v[14:15], vcc, v[2:3], v[8:9], v[2:3]
	v_fma_f64 v[16:17], -v[10:11], v[12:13], 1.0
	v_fmac_f64_e32 v[12:13], v[12:13], v[16:17]
	v_fma_f64 v[16:17], -v[10:11], v[12:13], 1.0
	v_fmac_f64_e32 v[12:13], v[12:13], v[16:17]
	v_mul_f64 v[16:17], v[14:15], v[12:13]
	v_fma_f64 v[10:11], -v[10:11], v[16:17], v[14:15]
	v_div_fmas_f64 v[10:11], v[10:11], v[12:13], v[16:17]
	v_div_fixup_f64 v[2:3], v[10:11], v[8:9], v[2:3]
	ds_write_b64 v7, v[2:3] offset:12792
.LBB39_30:
	s_or_b64 exec, exec, s[18:19]
	s_waitcnt lgkmcnt(0)
	s_barrier
	s_and_saveexec_b64 s[16:17], s[14:15]
	s_cbranch_execz .LBB39_36
; %bb.31:
	v_lshlrev_b32_e32 v2, 6, v0
	v_lshlrev_b32_e32 v7, 3, v2
                                        ; implicit-def: $vgpr2_vgpr3
	s_and_saveexec_b64 s[14:15], s[12:13]
	s_xor_b64 s[14:15], exec, s[14:15]
	s_cbranch_execz .LBB39_33
; %bb.32:
	ds_read_b64 v[2:3], v7 offset:248
	ds_read_b64 v[8:9], v7 offset:16632
	ds_read_b64 v[10:11], v7 offset:12280
	s_waitcnt lgkmcnt(0)
	v_fma_f64 v[2:3], -v[2:3], v[10:11], v[8:9]
.LBB39_33:
	s_andn2_saveexec_b64 s[14:15], s[14:15]
	s_cbranch_execz .LBB39_35
; %bb.34:
	ds_read_b64 v[2:3], v7 offset:16632
.LBB39_35:
	s_or_b64 exec, exec, s[14:15]
	v_add_u32_e32 v8, 0xf8, v7
	ds_read_b64 v[12:13], v7 offset:12792
	ds_read2st64_b64 v[8:11], v8 offset0:8 offset1:16
	s_waitcnt lgkmcnt(0)
	v_fma_f64 v[2:3], -v[10:11], v[12:13], v[2:3]
	v_div_scale_f64 v[10:11], s[14:15], v[8:9], v[8:9], v[2:3]
	v_rcp_f64_e32 v[12:13], v[10:11]
	v_div_scale_f64 v[14:15], vcc, v[2:3], v[8:9], v[2:3]
	v_fma_f64 v[16:17], -v[10:11], v[12:13], 1.0
	v_fmac_f64_e32 v[12:13], v[12:13], v[16:17]
	v_fma_f64 v[16:17], -v[10:11], v[12:13], 1.0
	v_fmac_f64_e32 v[12:13], v[12:13], v[16:17]
	v_mul_f64 v[16:17], v[14:15], v[12:13]
	v_fma_f64 v[10:11], -v[10:11], v[16:17], v[14:15]
	v_div_fmas_f64 v[10:11], v[10:11], v[12:13], v[16:17]
	v_div_fixup_f64 v[2:3], v[10:11], v[8:9], v[2:3]
	ds_write_b64 v7, v[2:3] offset:12536
.LBB39_36:
	s_or_b64 exec, exec, s[16:17]
	s_waitcnt lgkmcnt(0)
	s_barrier
	s_and_saveexec_b64 s[14:15], s[10:11]
	s_cbranch_execz .LBB39_42
; %bb.37:
	v_lshlrev_b32_e32 v2, 5, v0
	v_lshlrev_b32_e32 v7, 3, v2
                                        ; implicit-def: $vgpr2_vgpr3
	s_and_saveexec_b64 s[10:11], s[12:13]
	s_xor_b64 s[10:11], exec, s[10:11]
	s_cbranch_execz .LBB39_39
; %bb.38:
	ds_read_b64 v[2:3], v7 offset:120
	ds_read_b64 v[8:9], v7 offset:16504
	ds_read_b64 v[10:11], v7 offset:12280
	s_waitcnt lgkmcnt(0)
	v_fma_f64 v[2:3], -v[2:3], v[10:11], v[8:9]
.LBB39_39:
	s_andn2_saveexec_b64 s[10:11], s[10:11]
	s_cbranch_execz .LBB39_41
; %bb.40:
	ds_read_b64 v[2:3], v7 offset:16504
.LBB39_41:
	s_or_b64 exec, exec, s[10:11]
	v_add_u32_e32 v8, 0x78, v7
	ds_read_b64 v[12:13], v7 offset:12536
	ds_read2st64_b64 v[8:11], v8 offset0:8 offset1:16
	s_waitcnt lgkmcnt(0)
	v_fma_f64 v[2:3], -v[10:11], v[12:13], v[2:3]
	v_div_scale_f64 v[10:11], s[10:11], v[8:9], v[8:9], v[2:3]
	v_rcp_f64_e32 v[12:13], v[10:11]
	v_div_scale_f64 v[14:15], vcc, v[2:3], v[8:9], v[2:3]
	v_fma_f64 v[16:17], -v[10:11], v[12:13], 1.0
	v_fmac_f64_e32 v[12:13], v[12:13], v[16:17]
	v_fma_f64 v[16:17], -v[10:11], v[12:13], 1.0
	v_fmac_f64_e32 v[12:13], v[12:13], v[16:17]
	v_mul_f64 v[16:17], v[14:15], v[12:13]
	v_fma_f64 v[10:11], -v[10:11], v[16:17], v[14:15]
	v_div_fmas_f64 v[10:11], v[10:11], v[12:13], v[16:17]
	v_div_fixup_f64 v[2:3], v[10:11], v[8:9], v[2:3]
	ds_write_b64 v7, v[2:3] offset:12408
.LBB39_42:
	;; [unrolled: 43-line block ×3, first 2 shown]
	s_or_b64 exec, exec, s[10:11]
	s_waitcnt lgkmcnt(0)
	s_barrier
	s_and_saveexec_b64 s[8:9], s[20:21]
	s_cbranch_execz .LBB39_54
; %bb.49:
	v_lshlrev_b32_e32 v1, 3, v1
                                        ; implicit-def: $vgpr2_vgpr3
	s_and_saveexec_b64 s[10:11], s[12:13]
	s_xor_b64 s[10:11], exec, s[10:11]
	s_cbranch_execz .LBB39_51
; %bb.50:
	ds_read_b64 v[2:3], v1 offset:24
	ds_read_b64 v[8:9], v1 offset:16408
	;; [unrolled: 1-line block ×3, first 2 shown]
	s_waitcnt lgkmcnt(0)
	v_fma_f64 v[2:3], -v[2:3], v[10:11], v[8:9]
.LBB39_51:
	s_andn2_saveexec_b64 s[10:11], s[10:11]
	s_cbranch_execz .LBB39_53
; %bb.52:
	ds_read_b64 v[2:3], v1 offset:16408
.LBB39_53:
	s_or_b64 exec, exec, s[10:11]
	v_add_u32_e32 v7, 24, v1
	ds_read_b64 v[12:13], v1 offset:12344
	ds_read2st64_b64 v[8:11], v7 offset0:8 offset1:16
	s_waitcnt lgkmcnt(0)
	v_fma_f64 v[2:3], -v[10:11], v[12:13], v[2:3]
	v_div_scale_f64 v[10:11], s[10:11], v[8:9], v[8:9], v[2:3]
	v_rcp_f64_e32 v[12:13], v[10:11]
	v_div_scale_f64 v[14:15], vcc, v[2:3], v[8:9], v[2:3]
	v_fma_f64 v[16:17], -v[10:11], v[12:13], 1.0
	v_fmac_f64_e32 v[12:13], v[12:13], v[16:17]
	v_fma_f64 v[16:17], -v[10:11], v[12:13], 1.0
	v_fmac_f64_e32 v[12:13], v[12:13], v[16:17]
	v_mul_f64 v[16:17], v[14:15], v[12:13]
	v_fma_f64 v[10:11], -v[10:11], v[16:17], v[14:15]
	v_div_fmas_f64 v[10:11], v[10:11], v[12:13], v[16:17]
	v_div_fixup_f64 v[2:3], v[10:11], v[8:9], v[2:3]
	ds_write_b64 v1, v[2:3] offset:12312
.LBB39_54:
	s_or_b64 exec, exec, s[8:9]
	s_waitcnt lgkmcnt(0)
	s_barrier
	s_and_saveexec_b64 s[8:9], s[2:3]
	s_cbranch_execz .LBB39_60
; %bb.55:
	v_lshlrev_b32_e32 v1, 2, v0
	v_lshlrev_b32_e32 v1, 3, v1
                                        ; implicit-def: $vgpr2_vgpr3
	s_and_saveexec_b64 s[2:3], s[12:13]
	s_xor_b64 s[2:3], exec, s[2:3]
	s_cbranch_execz .LBB39_57
; %bb.56:
	ds_read_b64 v[2:3], v1 offset:8
	ds_read_b64 v[8:9], v1 offset:16392
	;; [unrolled: 1-line block ×3, first 2 shown]
	s_waitcnt lgkmcnt(0)
	v_fma_f64 v[2:3], -v[2:3], v[10:11], v[8:9]
.LBB39_57:
	s_andn2_saveexec_b64 s[2:3], s[2:3]
	s_cbranch_execz .LBB39_59
; %bb.58:
	ds_read_b64 v[2:3], v1 offset:16392
.LBB39_59:
	s_or_b64 exec, exec, s[2:3]
	v_add_u32_e32 v7, 8, v1
	ds_read_b64 v[12:13], v1 offset:12312
	ds_read2st64_b64 v[8:11], v7 offset0:8 offset1:16
	s_waitcnt lgkmcnt(0)
	v_fma_f64 v[2:3], -v[10:11], v[12:13], v[2:3]
	v_div_scale_f64 v[10:11], s[2:3], v[8:9], v[8:9], v[2:3]
	v_rcp_f64_e32 v[12:13], v[10:11]
	v_div_scale_f64 v[14:15], vcc, v[2:3], v[8:9], v[2:3]
	v_fma_f64 v[16:17], -v[10:11], v[12:13], 1.0
	v_fmac_f64_e32 v[12:13], v[12:13], v[16:17]
	v_fma_f64 v[16:17], -v[10:11], v[12:13], 1.0
	v_fmac_f64_e32 v[12:13], v[12:13], v[16:17]
	v_mul_f64 v[16:17], v[14:15], v[12:13]
	v_fma_f64 v[10:11], -v[10:11], v[16:17], v[14:15]
	v_div_fmas_f64 v[10:11], v[10:11], v[12:13], v[16:17]
	v_div_fixup_f64 v[2:3], v[10:11], v[8:9], v[2:3]
	ds_write_b64 v1, v[2:3] offset:12296
.LBB39_60:
	s_or_b64 exec, exec, s[8:9]
	s_waitcnt lgkmcnt(0)
	s_barrier
	s_and_saveexec_b64 s[2:3], s[0:1]
	s_cbranch_execz .LBB39_66
; %bb.61:
	v_lshlrev_b32_e32 v0, 1, v0
	v_lshlrev_b32_e32 v2, 3, v0
                                        ; implicit-def: $vgpr0_vgpr1
	s_and_saveexec_b64 s[0:1], s[12:13]
	s_xor_b64 s[0:1], exec, s[0:1]
	s_cbranch_execz .LBB39_63
; %bb.62:
	ds_read_b64 v[0:1], v2
	ds_read_b64 v[8:9], v2 offset:16384
	ds_read_b64 v[10:11], v2 offset:12280
	s_waitcnt lgkmcnt(0)
	v_fma_f64 v[0:1], -v[0:1], v[10:11], v[8:9]
.LBB39_63:
	s_andn2_saveexec_b64 s[0:1], s[0:1]
	s_cbranch_execz .LBB39_65
; %bb.64:
	ds_read_b64 v[0:1], v2 offset:16384
.LBB39_65:
	s_or_b64 exec, exec, s[0:1]
	ds_read2st64_b64 v[8:11], v2 offset0:8 offset1:16
	ds_read_b64 v[12:13], v2 offset:12296
	s_waitcnt lgkmcnt(0)
	v_fma_f64 v[0:1], -v[10:11], v[12:13], v[0:1]
	v_div_scale_f64 v[10:11], s[0:1], v[8:9], v[8:9], v[0:1]
	v_rcp_f64_e32 v[12:13], v[10:11]
	v_div_scale_f64 v[14:15], vcc, v[0:1], v[8:9], v[0:1]
	v_fma_f64 v[16:17], -v[10:11], v[12:13], 1.0
	v_fmac_f64_e32 v[12:13], v[12:13], v[16:17]
	v_fma_f64 v[16:17], -v[10:11], v[12:13], 1.0
	v_fmac_f64_e32 v[12:13], v[12:13], v[16:17]
	v_mul_f64 v[16:17], v[14:15], v[12:13]
	v_fma_f64 v[10:11], -v[10:11], v[16:17], v[14:15]
	v_div_fmas_f64 v[10:11], v[10:11], v[12:13], v[16:17]
	v_div_fixup_f64 v[0:1], v[10:11], v[8:9], v[0:1]
	ds_write_b64 v2, v[0:1] offset:12288
.LBB39_66:
	s_or_b64 exec, exec, s[2:3]
	s_load_dword s0, s[4:5], 0x8
	s_waitcnt lgkmcnt(0)
	s_barrier
	ds_read2st64_b64 v[0:3], v6 offset1:4
	s_mul_i32 s7, s7, s0
	v_add_u32_e32 v6, s7, v4
	v_mov_b32_e32 v7, 0
	v_lshlrev_b64 v[8:9], 3, v[6:7]
	v_mov_b32_e32 v4, s23
	v_add_co_u32_e32 v8, vcc, s22, v8
	v_addc_co_u32_e32 v9, vcc, v4, v9, vcc
	v_add_u32_e32 v6, s7, v5
	s_waitcnt lgkmcnt(0)
	global_store_dwordx2 v[8:9], v[0:1], off
	v_lshlrev_b64 v[0:1], 3, v[6:7]
	v_add_co_u32_e32 v0, vcc, s22, v0
	v_addc_co_u32_e32 v1, vcc, v4, v1, vcc
	global_store_dwordx2 v[0:1], v[2:3], off
	s_endpgm
	.section	.rodata,"a",@progbits
	.p2align	6, 0x0
	.amdhsa_kernel _ZN9rocsparseL48gtsv_nopivot_strided_batch_cr_pow2_stage2_kernelILj256EdEEviiiPKT0_S3_S3_S3_PS1_
		.amdhsa_group_segment_fixed_size 20480
		.amdhsa_private_segment_fixed_size 0
		.amdhsa_kernarg_size 312
		.amdhsa_user_sgpr_count 6
		.amdhsa_user_sgpr_private_segment_buffer 1
		.amdhsa_user_sgpr_dispatch_ptr 0
		.amdhsa_user_sgpr_queue_ptr 0
		.amdhsa_user_sgpr_kernarg_segment_ptr 1
		.amdhsa_user_sgpr_dispatch_id 0
		.amdhsa_user_sgpr_flat_scratch_init 0
		.amdhsa_user_sgpr_kernarg_preload_length 0
		.amdhsa_user_sgpr_kernarg_preload_offset 0
		.amdhsa_user_sgpr_private_segment_size 0
		.amdhsa_uses_dynamic_stack 0
		.amdhsa_system_sgpr_private_segment_wavefront_offset 0
		.amdhsa_system_sgpr_workgroup_id_x 1
		.amdhsa_system_sgpr_workgroup_id_y 1
		.amdhsa_system_sgpr_workgroup_id_z 0
		.amdhsa_system_sgpr_workgroup_info 0
		.amdhsa_system_vgpr_workitem_id 0
		.amdhsa_next_free_vgpr 38
		.amdhsa_next_free_sgpr 26
		.amdhsa_accum_offset 40
		.amdhsa_reserve_vcc 1
		.amdhsa_reserve_flat_scratch 0
		.amdhsa_float_round_mode_32 0
		.amdhsa_float_round_mode_16_64 0
		.amdhsa_float_denorm_mode_32 3
		.amdhsa_float_denorm_mode_16_64 3
		.amdhsa_dx10_clamp 1
		.amdhsa_ieee_mode 1
		.amdhsa_fp16_overflow 0
		.amdhsa_tg_split 0
		.amdhsa_exception_fp_ieee_invalid_op 0
		.amdhsa_exception_fp_denorm_src 0
		.amdhsa_exception_fp_ieee_div_zero 0
		.amdhsa_exception_fp_ieee_overflow 0
		.amdhsa_exception_fp_ieee_underflow 0
		.amdhsa_exception_fp_ieee_inexact 0
		.amdhsa_exception_int_div_zero 0
	.end_amdhsa_kernel
	.section	.text._ZN9rocsparseL48gtsv_nopivot_strided_batch_cr_pow2_stage2_kernelILj256EdEEviiiPKT0_S3_S3_S3_PS1_,"axG",@progbits,_ZN9rocsparseL48gtsv_nopivot_strided_batch_cr_pow2_stage2_kernelILj256EdEEviiiPKT0_S3_S3_S3_PS1_,comdat
.Lfunc_end39:
	.size	_ZN9rocsparseL48gtsv_nopivot_strided_batch_cr_pow2_stage2_kernelILj256EdEEviiiPKT0_S3_S3_S3_PS1_, .Lfunc_end39-_ZN9rocsparseL48gtsv_nopivot_strided_batch_cr_pow2_stage2_kernelILj256EdEEviiiPKT0_S3_S3_S3_PS1_
                                        ; -- End function
	.section	.AMDGPU.csdata,"",@progbits
; Kernel info:
; codeLenInByte = 5432
; NumSgprs: 30
; NumVgprs: 38
; NumAgprs: 0
; TotalNumVgprs: 38
; ScratchSize: 0
; MemoryBound: 0
; FloatMode: 240
; IeeeMode: 1
; LDSByteSize: 20480 bytes/workgroup (compile time only)
; SGPRBlocks: 3
; VGPRBlocks: 4
; NumSGPRsForWavesPerEU: 30
; NumVGPRsForWavesPerEU: 38
; AccumOffset: 40
; Occupancy: 3
; WaveLimiterHint : 0
; COMPUTE_PGM_RSRC2:SCRATCH_EN: 0
; COMPUTE_PGM_RSRC2:USER_SGPR: 6
; COMPUTE_PGM_RSRC2:TRAP_HANDLER: 0
; COMPUTE_PGM_RSRC2:TGID_X_EN: 1
; COMPUTE_PGM_RSRC2:TGID_Y_EN: 1
; COMPUTE_PGM_RSRC2:TGID_Z_EN: 0
; COMPUTE_PGM_RSRC2:TIDIG_COMP_CNT: 0
; COMPUTE_PGM_RSRC3_GFX90A:ACCUM_OFFSET: 9
; COMPUTE_PGM_RSRC3_GFX90A:TG_SPLIT: 0
	.section	.text._ZN9rocsparseL44gtsv_nopivot_strided_batch_pcr_stage1_kernelILj256EdEEviiiiPKT0_S3_S3_S3_PS1_S4_S4_S4_,"axG",@progbits,_ZN9rocsparseL44gtsv_nopivot_strided_batch_pcr_stage1_kernelILj256EdEEviiiiPKT0_S3_S3_S3_PS1_S4_S4_S4_,comdat
	.globl	_ZN9rocsparseL44gtsv_nopivot_strided_batch_pcr_stage1_kernelILj256EdEEviiiiPKT0_S3_S3_S3_PS1_S4_S4_S4_ ; -- Begin function _ZN9rocsparseL44gtsv_nopivot_strided_batch_pcr_stage1_kernelILj256EdEEviiiiPKT0_S3_S3_S3_PS1_S4_S4_S4_
	.p2align	8
	.type	_ZN9rocsparseL44gtsv_nopivot_strided_batch_pcr_stage1_kernelILj256EdEEviiiiPKT0_S3_S3_S3_PS1_S4_S4_S4_,@function
_ZN9rocsparseL44gtsv_nopivot_strided_batch_pcr_stage1_kernelILj256EdEEviiiiPKT0_S3_S3_S3_PS1_S4_S4_S4_: ; @_ZN9rocsparseL44gtsv_nopivot_strided_batch_pcr_stage1_kernelILj256EdEEviiiiPKT0_S3_S3_S3_PS1_S4_S4_S4_
; %bb.0:
	s_load_dwordx2 s[0:1], s[4:5], 0x0
	v_lshl_or_b32 v0, s6, 8, v0
	s_waitcnt lgkmcnt(0)
	v_cmp_gt_i32_e32 vcc, s1, v0
	s_and_saveexec_b64 s[2:3], vcc
	s_cbranch_execz .LBB40_2
; %bb.1:
	s_load_dword s3, s[4:5], 0xc
	s_load_dwordx8 s[8:15], s[4:5], 0x30
	s_load_dwordx8 s[16:23], s[4:5], 0x10
	s_mul_i32 s2, s7, s1
	v_add_u32_e32 v1, s0, v0
	s_waitcnt lgkmcnt(0)
	s_mul_i32 s4, s7, s3
	s_ashr_i32 s5, s4, 31
	s_lshl_b64 s[6:7], s[4:5], 3
	s_add_u32 s24, s16, s6
	s_addc_u32 s25, s17, s7
	s_ashr_i32 s3, s2, 31
	s_lshl_b64 s[16:17], s[2:3], 3
	s_add_u32 s2, s8, s16
	s_addc_u32 s4, s9, s17
	s_add_u32 s8, s18, s6
	s_addc_u32 s9, s19, s7
	;; [unrolled: 2-line block ×7, first 2 shown]
	s_add_i32 s14, s1, -1
	v_mov_b32_e32 v2, s14
	v_cmp_gt_i32_e32 vcc, s1, v1
	v_cndmask_b32_e32 v2, v2, v1, vcc
	v_subrev_u32_e32 v1, s0, v0
	v_max_i32_e32 v4, 0, v1
	v_ashrrev_i32_e32 v1, 31, v0
	v_lshlrev_b64 v[0:1], 3, v[0:1]
	v_mov_b32_e32 v3, s25
	v_add_co_u32_e32 v6, vcc, s24, v0
	v_mov_b32_e32 v5, 0
	v_addc_co_u32_e32 v7, vcc, v3, v1, vcc
	v_lshlrev_b64 v[4:5], 3, v[4:5]
	v_mov_b32_e32 v3, s9
	v_add_co_u32_e32 v8, vcc, s8, v4
	v_addc_co_u32_e32 v9, vcc, v3, v5, vcc
	global_load_dwordx2 v[6:7], v[6:7], off
	v_mov_b32_e32 v3, s19
	global_load_dwordx2 v[8:9], v[8:9], off
	v_add_co_u32_e32 v10, vcc, s18, v0
	v_addc_co_u32_e32 v11, vcc, v3, v1, vcc
	v_ashrrev_i32_e32 v3, 31, v2
	v_lshlrev_b64 v[2:3], 3, v[2:3]
	v_mov_b32_e32 v13, s9
	v_add_co_u32_e32 v12, vcc, s8, v2
	v_addc_co_u32_e32 v13, vcc, v13, v3, vcc
	global_load_dwordx2 v[10:11], v[10:11], off
	v_mov_b32_e32 v15, s7
	global_load_dwordx2 v[12:13], v[12:13], off
	v_add_co_u32_e32 v14, vcc, s6, v2
	v_addc_co_u32_e32 v15, vcc, v15, v3, vcc
	v_mov_b32_e32 v17, s7
	v_add_co_u32_e32 v16, vcc, s6, v4
	v_addc_co_u32_e32 v17, vcc, v17, v5, vcc
	v_mov_b32_e32 v19, s9
	v_add_co_u32_e32 v18, vcc, s8, v0
	v_addc_co_u32_e32 v19, vcc, v19, v1, vcc
	global_load_dwordx2 v[18:19], v[18:19], off
	v_mov_b32_e32 v21, s19
	v_add_co_u32_e32 v20, vcc, s18, v4
	v_addc_co_u32_e32 v21, vcc, v21, v5, vcc
	v_mov_b32_e32 v23, s25
	v_add_co_u32_e32 v22, vcc, s24, v2
	v_addc_co_u32_e32 v23, vcc, v23, v3, vcc
	global_load_dwordx2 v[20:21], v[20:21], off
	s_nop 0
	global_load_dwordx2 v[24:25], v[22:23], off
	global_load_dwordx2 v[26:27], v[16:17], off
	v_mov_b32_e32 v17, s7
	v_add_co_u32_e32 v16, vcc, s6, v0
	v_addc_co_u32_e32 v17, vcc, v17, v1, vcc
	global_load_dwordx2 v[22:23], v[16:17], off
	global_load_dwordx2 v[28:29], v[14:15], off
	v_mov_b32_e32 v14, s25
	v_add_co_u32_e32 v4, vcc, s24, v4
	v_addc_co_u32_e32 v5, vcc, v14, v5, vcc
	global_load_dwordx2 v[4:5], v[4:5], off
	v_mov_b32_e32 v14, s19
	v_add_co_u32_e32 v2, vcc, s18, v2
	v_addc_co_u32_e32 v3, vcc, v14, v3, vcc
	global_load_dwordx2 v[2:3], v[2:3], off
	s_waitcnt vmcnt(10)
	v_div_scale_f64 v[14:15], s[0:1], v[8:9], v[8:9], v[6:7]
	v_rcp_f64_e32 v[16:17], v[14:15]
	v_fma_f64 v[30:31], -v[14:15], v[16:17], 1.0
	v_fmac_f64_e32 v[16:17], v[16:17], v[30:31]
	v_fma_f64 v[30:31], -v[14:15], v[16:17], 1.0
	v_fmac_f64_e32 v[16:17], v[16:17], v[30:31]
	v_div_scale_f64 v[30:31], vcc, v[6:7], v[8:9], v[6:7]
	v_mul_f64 v[32:33], v[30:31], v[16:17]
	v_fma_f64 v[14:15], -v[14:15], v[32:33], v[30:31]
	s_waitcnt vmcnt(8)
	v_div_scale_f64 v[30:31], s[0:1], v[12:13], v[12:13], v[10:11]
	v_rcp_f64_e32 v[34:35], v[30:31]
	v_div_fmas_f64 v[14:15], v[14:15], v[16:17], v[32:33]
	v_div_fixup_f64 v[6:7], v[14:15], v[8:9], v[6:7]
	v_fma_f64 v[8:9], -v[30:31], v[34:35], 1.0
	v_fmac_f64_e32 v[34:35], v[34:35], v[8:9]
	v_fma_f64 v[8:9], -v[30:31], v[34:35], 1.0
	v_fmac_f64_e32 v[34:35], v[34:35], v[8:9]
	v_div_scale_f64 v[8:9], vcc, v[10:11], v[12:13], v[10:11]
	v_mul_f64 v[14:15], v[8:9], v[34:35]
	v_fma_f64 v[8:9], -v[30:31], v[14:15], v[8:9]
	s_waitcnt vmcnt(1)
	v_mul_f64 v[4:5], v[6:7], -v[4:5]
	v_div_fmas_f64 v[8:9], v[8:9], v[34:35], v[14:15]
	v_div_fixup_f64 v[8:9], v[8:9], v[12:13], v[10:11]
	v_fma_f64 v[10:11], -v[6:7], v[20:21], v[18:19]
	v_mov_b32_e32 v13, s11
	v_add_co_u32_e32 v12, vcc, s10, v0
	v_fma_f64 v[10:11], -v[8:9], v[24:25], v[10:11]
	v_addc_co_u32_e32 v13, vcc, v13, v1, vcc
	global_store_dwordx2 v[12:13], v[10:11], off
	v_mov_b32_e32 v13, s13
	v_add_co_u32_e32 v12, vcc, s12, v0
	v_addc_co_u32_e32 v13, vcc, v13, v1, vcc
	v_fma_f64 v[10:11], -v[6:7], v[26:27], v[22:23]
	v_mov_b32_e32 v7, s4
	v_add_co_u32_e32 v6, vcc, s2, v0
	v_addc_co_u32_e32 v7, vcc, v7, v1, vcc
	global_store_dwordx2 v[6:7], v[4:5], off
	v_mov_b32_e32 v4, s5
	v_add_co_u32_e32 v0, vcc, s3, v0
	v_fma_f64 v[10:11], -v[28:29], v[8:9], v[10:11]
	s_waitcnt vmcnt(2)
	v_mul_f64 v[2:3], v[8:9], -v[2:3]
	v_addc_co_u32_e32 v1, vcc, v4, v1, vcc
	global_store_dwordx2 v[12:13], v[10:11], off
	global_store_dwordx2 v[0:1], v[2:3], off
.LBB40_2:
	s_endpgm
	.section	.rodata,"a",@progbits
	.p2align	6, 0x0
	.amdhsa_kernel _ZN9rocsparseL44gtsv_nopivot_strided_batch_pcr_stage1_kernelILj256EdEEviiiiPKT0_S3_S3_S3_PS1_S4_S4_S4_
		.amdhsa_group_segment_fixed_size 0
		.amdhsa_private_segment_fixed_size 0
		.amdhsa_kernarg_size 80
		.amdhsa_user_sgpr_count 6
		.amdhsa_user_sgpr_private_segment_buffer 1
		.amdhsa_user_sgpr_dispatch_ptr 0
		.amdhsa_user_sgpr_queue_ptr 0
		.amdhsa_user_sgpr_kernarg_segment_ptr 1
		.amdhsa_user_sgpr_dispatch_id 0
		.amdhsa_user_sgpr_flat_scratch_init 0
		.amdhsa_user_sgpr_kernarg_preload_length 0
		.amdhsa_user_sgpr_kernarg_preload_offset 0
		.amdhsa_user_sgpr_private_segment_size 0
		.amdhsa_uses_dynamic_stack 0
		.amdhsa_system_sgpr_private_segment_wavefront_offset 0
		.amdhsa_system_sgpr_workgroup_id_x 1
		.amdhsa_system_sgpr_workgroup_id_y 1
		.amdhsa_system_sgpr_workgroup_id_z 0
		.amdhsa_system_sgpr_workgroup_info 0
		.amdhsa_system_vgpr_workitem_id 0
		.amdhsa_next_free_vgpr 36
		.amdhsa_next_free_sgpr 26
		.amdhsa_accum_offset 36
		.amdhsa_reserve_vcc 1
		.amdhsa_reserve_flat_scratch 0
		.amdhsa_float_round_mode_32 0
		.amdhsa_float_round_mode_16_64 0
		.amdhsa_float_denorm_mode_32 3
		.amdhsa_float_denorm_mode_16_64 3
		.amdhsa_dx10_clamp 1
		.amdhsa_ieee_mode 1
		.amdhsa_fp16_overflow 0
		.amdhsa_tg_split 0
		.amdhsa_exception_fp_ieee_invalid_op 0
		.amdhsa_exception_fp_denorm_src 0
		.amdhsa_exception_fp_ieee_div_zero 0
		.amdhsa_exception_fp_ieee_overflow 0
		.amdhsa_exception_fp_ieee_underflow 0
		.amdhsa_exception_fp_ieee_inexact 0
		.amdhsa_exception_int_div_zero 0
	.end_amdhsa_kernel
	.section	.text._ZN9rocsparseL44gtsv_nopivot_strided_batch_pcr_stage1_kernelILj256EdEEviiiiPKT0_S3_S3_S3_PS1_S4_S4_S4_,"axG",@progbits,_ZN9rocsparseL44gtsv_nopivot_strided_batch_pcr_stage1_kernelILj256EdEEviiiiPKT0_S3_S3_S3_PS1_S4_S4_S4_,comdat
.Lfunc_end40:
	.size	_ZN9rocsparseL44gtsv_nopivot_strided_batch_pcr_stage1_kernelILj256EdEEviiiiPKT0_S3_S3_S3_PS1_S4_S4_S4_, .Lfunc_end40-_ZN9rocsparseL44gtsv_nopivot_strided_batch_pcr_stage1_kernelILj256EdEEviiiiPKT0_S3_S3_S3_PS1_S4_S4_S4_
                                        ; -- End function
	.section	.AMDGPU.csdata,"",@progbits
; Kernel info:
; codeLenInByte = 756
; NumSgprs: 30
; NumVgprs: 36
; NumAgprs: 0
; TotalNumVgprs: 36
; ScratchSize: 0
; MemoryBound: 0
; FloatMode: 240
; IeeeMode: 1
; LDSByteSize: 0 bytes/workgroup (compile time only)
; SGPRBlocks: 3
; VGPRBlocks: 4
; NumSGPRsForWavesPerEU: 30
; NumVGPRsForWavesPerEU: 36
; AccumOffset: 36
; Occupancy: 8
; WaveLimiterHint : 0
; COMPUTE_PGM_RSRC2:SCRATCH_EN: 0
; COMPUTE_PGM_RSRC2:USER_SGPR: 6
; COMPUTE_PGM_RSRC2:TRAP_HANDLER: 0
; COMPUTE_PGM_RSRC2:TGID_X_EN: 1
; COMPUTE_PGM_RSRC2:TGID_Y_EN: 1
; COMPUTE_PGM_RSRC2:TGID_Z_EN: 0
; COMPUTE_PGM_RSRC2:TIDIG_COMP_CNT: 0
; COMPUTE_PGM_RSRC3_GFX90A:ACCUM_OFFSET: 8
; COMPUTE_PGM_RSRC3_GFX90A:TG_SPLIT: 0
	.section	.text._ZN9rocsparseL44gtsv_nopivot_strided_batch_pcr_stage2_kernelILj512EdEEviiiPKT0_S3_S3_S3_PS1_,"axG",@progbits,_ZN9rocsparseL44gtsv_nopivot_strided_batch_pcr_stage2_kernelILj512EdEEviiiPKT0_S3_S3_S3_PS1_,comdat
	.globl	_ZN9rocsparseL44gtsv_nopivot_strided_batch_pcr_stage2_kernelILj512EdEEviiiPKT0_S3_S3_S3_PS1_ ; -- Begin function _ZN9rocsparseL44gtsv_nopivot_strided_batch_pcr_stage2_kernelILj512EdEEviiiPKT0_S3_S3_S3_PS1_
	.p2align	8
	.type	_ZN9rocsparseL44gtsv_nopivot_strided_batch_pcr_stage2_kernelILj512EdEEviiiPKT0_S3_S3_S3_PS1_,@function
_ZN9rocsparseL44gtsv_nopivot_strided_batch_pcr_stage2_kernelILj512EdEEviiiPKT0_S3_S3_S3_PS1_: ; @_ZN9rocsparseL44gtsv_nopivot_strided_batch_pcr_stage2_kernelILj512EdEEviiiPKT0_S3_S3_S3_PS1_
; %bb.0:
	s_load_dword s0, s[4:5], 0x38
	s_load_dword s1, s[4:5], 0x0
	s_load_dwordx8 s[8:15], s[4:5], 0x10
	v_max_u32_e32 v12, 1, v0
	v_lshlrev_b32_e32 v24, 3, v12
	s_waitcnt lgkmcnt(0)
	v_mul_lo_u32 v1, s0, v0
	s_mul_i32 s2, s7, s1
	s_add_i32 s3, s6, s1
	s_add_i32 s3, s3, s2
	v_add_u32_e32 v1, s6, v1
	s_sub_i32 s0, s3, s0
	v_add_u32_e32 v2, s2, v1
	v_mov_b32_e32 v3, s0
	v_cmp_gt_i32_e64 s[0:1], s1, v1
	v_cndmask_b32_e64 v2, v3, v2, s[0:1]
	v_mov_b32_e32 v3, 0
	v_lshlrev_b64 v[2:3], 3, v[2:3]
	v_mov_b32_e32 v5, s9
	v_add_co_u32_e32 v4, vcc, s8, v2
	v_addc_co_u32_e32 v5, vcc, v5, v3, vcc
	v_mov_b32_e32 v7, s11
	v_add_co_u32_e32 v6, vcc, s10, v2
	v_addc_co_u32_e32 v7, vcc, v7, v3, vcc
	;; [unrolled: 3-line block ×3, first 2 shown]
	v_mov_b32_e32 v10, s15
	v_add_co_u32_e32 v2, vcc, s14, v2
	global_load_dwordx2 v[4:5], v[4:5], off
	v_addc_co_u32_e32 v3, vcc, v10, v3, vcc
	global_load_dwordx2 v[6:7], v[6:7], off
	v_min_u32_e32 v13, 0x1fd, v0
	global_load_dwordx2 v[8:9], v[8:9], off
	v_max_u32_e32 v14, 2, v0
	global_load_dwordx2 v[10:11], v[2:3], off
	v_min_u32_e32 v3, 0x1fe, v0
	v_lshlrev_b32_e32 v2, 3, v0
	v_lshlrev_b32_e32 v3, 3, v3
	v_add_u32_e32 v26, -8, v24
	v_add_u32_e32 v12, 0x1f8, v24
	v_lshlrev_b32_e32 v44, 3, v14
	v_lshlrev_b32_e32 v45, 3, v13
	v_add_u32_e32 v3, 8, v3
	v_add_u32_e32 v47, 0x1f0, v44
	v_add_u32_e32 v46, -16, v44
	s_movk_i32 s6, 0x100
	s_waitcnt vmcnt(2)
	ds_write2st64_b64 v2, v[4:5], v[6:7] offset1:8
	s_waitcnt vmcnt(0)
	ds_write2st64_b64 v2, v[8:9], v[10:11] offset0:16 offset1:32
	s_waitcnt lgkmcnt(0)
	s_barrier
	ds_read2st64_b64 v[4:7], v2 offset1:8
	ds_read2st64_b64 v[8:11], v12 offset0:7 offset1:15
	ds_read2st64_b64 v[12:15], v2 offset0:16 offset1:32
	ds_read2st64_b64 v[16:19], v3 offset1:8
	ds_read2st64_b64 v[20:23], v3 offset0:16 offset1:32
	ds_read_b64 v[24:25], v24 offset:16376
	ds_read_b64 v[26:27], v26
	s_waitcnt lgkmcnt(5)
	v_div_scale_f64 v[28:29], s[2:3], v[8:9], v[8:9], v[4:5]
	s_waitcnt lgkmcnt(3)
	v_div_scale_f64 v[32:33], s[2:3], v[18:19], v[18:19], v[12:13]
	v_rcp_f64_e32 v[34:35], v[28:29]
	v_rcp_f64_e32 v[36:37], v[32:33]
	v_div_scale_f64 v[30:31], vcc, v[4:5], v[8:9], v[4:5]
	v_fma_f64 v[40:41], -v[28:29], v[34:35], 1.0
	v_fma_f64 v[42:43], -v[32:33], v[36:37], 1.0
	v_fmac_f64_e32 v[34:35], v[34:35], v[40:41]
	v_fmac_f64_e32 v[36:37], v[36:37], v[42:43]
	v_fma_f64 v[40:41], -v[28:29], v[34:35], 1.0
	v_fma_f64 v[42:43], -v[32:33], v[36:37], 1.0
	v_fmac_f64_e32 v[34:35], v[34:35], v[40:41]
	v_div_scale_f64 v[38:39], s[2:3], v[12:13], v[18:19], v[12:13]
	v_fmac_f64_e32 v[36:37], v[36:37], v[42:43]
	v_mul_f64 v[40:41], v[30:31], v[34:35]
	v_mul_f64 v[42:43], v[38:39], v[36:37]
	v_fma_f64 v[28:29], -v[28:29], v[40:41], v[30:31]
	v_fma_f64 v[30:31], -v[32:33], v[42:43], v[38:39]
	v_div_fmas_f64 v[28:29], v[28:29], v[34:35], v[40:41]
	s_mov_b64 vcc, s[2:3]
	v_div_fixup_f64 v[4:5], v[28:29], v[8:9], v[4:5]
	v_div_fmas_f64 v[8:9], v[30:31], v[36:37], v[42:43]
	v_div_fixup_f64 v[8:9], v[8:9], v[18:19], v[12:13]
	v_fma_f64 v[6:7], -v[4:5], v[10:11], v[6:7]
	s_waitcnt lgkmcnt(1)
	v_fma_f64 v[10:11], -v[4:5], v[24:25], v[14:15]
	s_waitcnt lgkmcnt(0)
	v_mul_f64 v[4:5], v[4:5], -v[26:27]
	v_fma_f64 v[6:7], -v[8:9], v[16:17], v[6:7]
	v_fma_f64 v[10:11], -v[8:9], v[22:23], v[10:11]
	v_mul_f64 v[8:9], v[8:9], -v[20:21]
	s_barrier
	ds_write2st64_b64 v2, v[4:5], v[6:7] offset1:8
	ds_write2st64_b64 v2, v[8:9], v[10:11] offset0:16 offset1:32
	s_waitcnt lgkmcnt(0)
	s_barrier
	ds_read2st64_b64 v[4:7], v2 offset1:8
	ds_read2st64_b64 v[8:11], v47 offset0:7 offset1:15
	v_add_u32_e32 v3, 16, v45
	ds_read2st64_b64 v[12:15], v2 offset0:16 offset1:32
	ds_read2st64_b64 v[16:19], v3 offset1:8
	s_waitcnt lgkmcnt(2)
	v_div_scale_f64 v[20:21], s[2:3], v[8:9], v[8:9], v[4:5]
	v_rcp_f64_e32 v[22:23], v[20:21]
	v_div_scale_f64 v[24:25], vcc, v[4:5], v[8:9], v[4:5]
	s_waitcnt lgkmcnt(0)
	v_div_scale_f64 v[26:27], s[2:3], v[18:19], v[18:19], v[12:13]
	v_fma_f64 v[28:29], -v[20:21], v[22:23], 1.0
	v_fmac_f64_e32 v[22:23], v[22:23], v[28:29]
	v_fma_f64 v[28:29], -v[20:21], v[22:23], 1.0
	v_fmac_f64_e32 v[22:23], v[22:23], v[28:29]
	v_mul_f64 v[28:29], v[24:25], v[22:23]
	v_fma_f64 v[20:21], -v[20:21], v[28:29], v[24:25]
	v_rcp_f64_e32 v[24:25], v[26:27]
	v_div_fmas_f64 v[20:21], v[20:21], v[22:23], v[28:29]
	v_div_fixup_f64 v[4:5], v[20:21], v[8:9], v[4:5]
	v_fma_f64 v[6:7], -v[4:5], v[10:11], v[6:7]
	v_fma_f64 v[8:9], -v[26:27], v[24:25], 1.0
	v_fmac_f64_e32 v[24:25], v[24:25], v[8:9]
	v_fma_f64 v[8:9], -v[26:27], v[24:25], 1.0
	v_fmac_f64_e32 v[24:25], v[24:25], v[8:9]
	v_div_scale_f64 v[8:9], vcc, v[12:13], v[18:19], v[12:13]
	v_mul_f64 v[20:21], v[8:9], v[24:25]
	v_fma_f64 v[8:9], -v[26:27], v[20:21], v[8:9]
	s_nop 1
	v_div_fmas_f64 v[8:9], v[8:9], v[24:25], v[20:21]
	v_div_fixup_f64 v[8:9], v[8:9], v[18:19], v[12:13]
	ds_read_b64 v[12:13], v44 offset:16368
	ds_read2st64_b64 v[18:21], v3 offset0:16 offset1:32
	ds_read_b64 v[22:23], v46
	v_max_u32_e32 v3, 4, v0
	v_fma_f64 v[6:7], -v[8:9], v[16:17], v[6:7]
	s_waitcnt lgkmcnt(2)
	v_fma_f64 v[10:11], -v[4:5], v[12:13], v[14:15]
	s_waitcnt lgkmcnt(1)
	;; [unrolled: 2-line block ×3, first 2 shown]
	v_mul_f64 v[4:5], v[4:5], -v[22:23]
	v_mul_f64 v[8:9], v[8:9], -v[18:19]
	v_lshlrev_b32_e32 v3, 3, v3
	s_barrier
	ds_write2st64_b64 v2, v[4:5], v[6:7] offset1:8
	ds_write2st64_b64 v2, v[8:9], v[10:11] offset0:16 offset1:32
	v_add_u32_e32 v8, 0x1e0, v3
	s_waitcnt lgkmcnt(0)
	s_barrier
	ds_read2st64_b64 v[4:7], v2 offset1:8
	ds_read2st64_b64 v[8:11], v8 offset0:7 offset1:15
	v_min_u32_e32 v16, 0x1fb, v0
	v_lshlrev_b32_e32 v16, 3, v16
	v_add_u32_e32 v31, 32, v16
	ds_read2st64_b64 v[16:19], v31 offset1:8
	s_waitcnt lgkmcnt(1)
	v_div_scale_f64 v[20:21], s[2:3], v[8:9], v[8:9], v[4:5]
	v_rcp_f64_e32 v[22:23], v[20:21]
	v_div_scale_f64 v[24:25], vcc, v[4:5], v[8:9], v[4:5]
	v_subrev_u32_e32 v30, 32, v3
	v_fma_f64 v[12:13], -v[20:21], v[22:23], 1.0
	v_fmac_f64_e32 v[22:23], v[22:23], v[12:13]
	v_fma_f64 v[12:13], -v[20:21], v[22:23], 1.0
	v_fmac_f64_e32 v[22:23], v[22:23], v[12:13]
	ds_read2st64_b64 v[12:15], v2 offset0:16 offset1:32
	v_mul_f64 v[26:27], v[24:25], v[22:23]
	v_fma_f64 v[20:21], -v[20:21], v[26:27], v[24:25]
	v_div_fmas_f64 v[20:21], v[20:21], v[22:23], v[26:27]
	v_div_fixup_f64 v[4:5], v[20:21], v[8:9], v[4:5]
	s_waitcnt lgkmcnt(0)
	v_div_scale_f64 v[24:25], s[2:3], v[18:19], v[18:19], v[12:13]
	v_rcp_f64_e32 v[28:29], v[24:25]
	v_fma_f64 v[6:7], -v[4:5], v[10:11], v[6:7]
	v_fma_f64 v[8:9], -v[24:25], v[28:29], 1.0
	v_fmac_f64_e32 v[28:29], v[28:29], v[8:9]
	v_fma_f64 v[8:9], -v[24:25], v[28:29], 1.0
	v_fmac_f64_e32 v[28:29], v[28:29], v[8:9]
	v_div_scale_f64 v[8:9], vcc, v[12:13], v[18:19], v[12:13]
	v_mul_f64 v[20:21], v[8:9], v[28:29]
	v_fma_f64 v[8:9], -v[24:25], v[20:21], v[8:9]
	s_nop 1
	v_div_fmas_f64 v[8:9], v[8:9], v[28:29], v[20:21]
	v_div_fixup_f64 v[8:9], v[8:9], v[18:19], v[12:13]
	ds_read_b64 v[12:13], v3 offset:16352
	ds_read2st64_b64 v[18:21], v31 offset0:16 offset1:32
	ds_read_b64 v[22:23], v30
	v_max_u32_e32 v3, 8, v0
	v_fma_f64 v[6:7], -v[8:9], v[16:17], v[6:7]
	s_waitcnt lgkmcnt(2)
	v_fma_f64 v[10:11], -v[4:5], v[12:13], v[14:15]
	s_waitcnt lgkmcnt(1)
	;; [unrolled: 2-line block ×3, first 2 shown]
	v_mul_f64 v[4:5], v[4:5], -v[22:23]
	v_mul_f64 v[8:9], v[8:9], -v[18:19]
	v_lshlrev_b32_e32 v3, 3, v3
	s_barrier
	ds_write2st64_b64 v2, v[4:5], v[6:7] offset1:8
	ds_write2st64_b64 v2, v[8:9], v[10:11] offset0:16 offset1:32
	v_add_u32_e32 v8, 0x1c0, v3
	s_waitcnt lgkmcnt(0)
	s_barrier
	ds_read2st64_b64 v[4:7], v2 offset1:8
	ds_read2st64_b64 v[8:11], v8 offset0:7 offset1:15
	v_min_u32_e32 v16, 0x1f7, v0
	v_lshlrev_b32_e32 v16, 3, v16
	v_add_u32_e32 v31, 64, v16
	ds_read2st64_b64 v[16:19], v31 offset1:8
	s_waitcnt lgkmcnt(1)
	v_div_scale_f64 v[20:21], s[2:3], v[8:9], v[8:9], v[4:5]
	v_rcp_f64_e32 v[22:23], v[20:21]
	v_div_scale_f64 v[24:25], vcc, v[4:5], v[8:9], v[4:5]
	v_subrev_u32_e32 v30, 64, v3
	v_fma_f64 v[12:13], -v[20:21], v[22:23], 1.0
	v_fmac_f64_e32 v[22:23], v[22:23], v[12:13]
	v_fma_f64 v[12:13], -v[20:21], v[22:23], 1.0
	v_fmac_f64_e32 v[22:23], v[22:23], v[12:13]
	ds_read2st64_b64 v[12:15], v2 offset0:16 offset1:32
	v_mul_f64 v[26:27], v[24:25], v[22:23]
	v_fma_f64 v[20:21], -v[20:21], v[26:27], v[24:25]
	v_div_fmas_f64 v[20:21], v[20:21], v[22:23], v[26:27]
	v_div_fixup_f64 v[4:5], v[20:21], v[8:9], v[4:5]
	s_waitcnt lgkmcnt(0)
	v_div_scale_f64 v[24:25], s[2:3], v[18:19], v[18:19], v[12:13]
	v_rcp_f64_e32 v[28:29], v[24:25]
	v_fma_f64 v[6:7], -v[4:5], v[10:11], v[6:7]
	v_fma_f64 v[8:9], -v[24:25], v[28:29], 1.0
	v_fmac_f64_e32 v[28:29], v[28:29], v[8:9]
	v_fma_f64 v[8:9], -v[24:25], v[28:29], 1.0
	v_fmac_f64_e32 v[28:29], v[28:29], v[8:9]
	v_div_scale_f64 v[8:9], vcc, v[12:13], v[18:19], v[12:13]
	v_mul_f64 v[20:21], v[8:9], v[28:29]
	v_fma_f64 v[8:9], -v[24:25], v[20:21], v[8:9]
	s_nop 1
	v_div_fmas_f64 v[8:9], v[8:9], v[28:29], v[20:21]
	v_div_fixup_f64 v[8:9], v[8:9], v[18:19], v[12:13]
	ds_read_b64 v[12:13], v3 offset:16320
	ds_read2st64_b64 v[18:21], v31 offset0:16 offset1:32
	ds_read_b64 v[22:23], v30
	v_max_u32_e32 v3, 16, v0
	v_fma_f64 v[6:7], -v[8:9], v[16:17], v[6:7]
	s_waitcnt lgkmcnt(2)
	v_fma_f64 v[10:11], -v[4:5], v[12:13], v[14:15]
	s_waitcnt lgkmcnt(1)
	;; [unrolled: 2-line block ×3, first 2 shown]
	v_mul_f64 v[4:5], v[4:5], -v[22:23]
	v_mul_f64 v[8:9], v[8:9], -v[18:19]
	v_lshlrev_b32_e32 v3, 3, v3
	s_barrier
	ds_write2st64_b64 v2, v[4:5], v[6:7] offset1:8
	ds_write2st64_b64 v2, v[8:9], v[10:11] offset0:16 offset1:32
	v_add_u32_e32 v8, 0x180, v3
	s_waitcnt lgkmcnt(0)
	s_barrier
	ds_read2st64_b64 v[4:7], v2 offset1:8
	ds_read2st64_b64 v[8:11], v8 offset0:7 offset1:15
	v_min_u32_e32 v16, 0x1ef, v0
	v_lshlrev_b32_e32 v16, 3, v16
	v_add_u32_e32 v31, 0x80, v16
	ds_read2st64_b64 v[16:19], v31 offset1:8
	s_waitcnt lgkmcnt(1)
	v_div_scale_f64 v[20:21], s[2:3], v[8:9], v[8:9], v[4:5]
	v_rcp_f64_e32 v[22:23], v[20:21]
	v_div_scale_f64 v[24:25], vcc, v[4:5], v[8:9], v[4:5]
	v_add_u32_e32 v30, 0xffffff80, v3
	v_fma_f64 v[12:13], -v[20:21], v[22:23], 1.0
	v_fmac_f64_e32 v[22:23], v[22:23], v[12:13]
	v_fma_f64 v[12:13], -v[20:21], v[22:23], 1.0
	v_fmac_f64_e32 v[22:23], v[22:23], v[12:13]
	ds_read2st64_b64 v[12:15], v2 offset0:16 offset1:32
	v_mul_f64 v[26:27], v[24:25], v[22:23]
	v_fma_f64 v[20:21], -v[20:21], v[26:27], v[24:25]
	v_div_fmas_f64 v[20:21], v[20:21], v[22:23], v[26:27]
	v_div_fixup_f64 v[4:5], v[20:21], v[8:9], v[4:5]
	s_waitcnt lgkmcnt(0)
	v_div_scale_f64 v[24:25], s[2:3], v[18:19], v[18:19], v[12:13]
	v_rcp_f64_e32 v[28:29], v[24:25]
	v_fma_f64 v[6:7], -v[4:5], v[10:11], v[6:7]
	v_fma_f64 v[8:9], -v[24:25], v[28:29], 1.0
	v_fmac_f64_e32 v[28:29], v[28:29], v[8:9]
	v_fma_f64 v[8:9], -v[24:25], v[28:29], 1.0
	v_fmac_f64_e32 v[28:29], v[28:29], v[8:9]
	v_div_scale_f64 v[8:9], vcc, v[12:13], v[18:19], v[12:13]
	v_mul_f64 v[20:21], v[8:9], v[28:29]
	v_fma_f64 v[8:9], -v[24:25], v[20:21], v[8:9]
	s_nop 1
	v_div_fmas_f64 v[8:9], v[8:9], v[28:29], v[20:21]
	v_div_fixup_f64 v[8:9], v[8:9], v[18:19], v[12:13]
	ds_read_b64 v[12:13], v3 offset:16256
	ds_read2st64_b64 v[18:21], v31 offset0:16 offset1:32
	ds_read_b64 v[22:23], v30
	v_max_u32_e32 v3, 32, v0
	v_fma_f64 v[6:7], -v[8:9], v[16:17], v[6:7]
	s_waitcnt lgkmcnt(2)
	v_fma_f64 v[10:11], -v[4:5], v[12:13], v[14:15]
	s_waitcnt lgkmcnt(1)
	;; [unrolled: 2-line block ×3, first 2 shown]
	v_mul_f64 v[4:5], v[4:5], -v[22:23]
	v_mul_f64 v[8:9], v[8:9], -v[18:19]
	v_lshlrev_b32_e32 v3, 3, v3
	s_barrier
	ds_write2st64_b64 v2, v[4:5], v[6:7] offset1:8
	ds_write2st64_b64 v2, v[8:9], v[10:11] offset0:16 offset1:32
	v_add_u32_e32 v8, 0x100, v3
	s_waitcnt lgkmcnt(0)
	s_barrier
	ds_read2st64_b64 v[4:7], v2 offset1:8
	ds_read2st64_b64 v[8:11], v8 offset0:7 offset1:15
	v_min_u32_e32 v16, 0x1df, v0
	v_lshlrev_b32_e32 v16, 3, v16
	v_add_u32_e32 v31, 0x100, v16
	ds_read2st64_b64 v[16:19], v31 offset1:8
	s_waitcnt lgkmcnt(1)
	v_div_scale_f64 v[20:21], s[2:3], v[8:9], v[8:9], v[4:5]
	v_rcp_f64_e32 v[22:23], v[20:21]
	v_div_scale_f64 v[24:25], vcc, v[4:5], v[8:9], v[4:5]
	v_add_u32_e32 v30, 0xffffff00, v3
	v_fma_f64 v[12:13], -v[20:21], v[22:23], 1.0
	v_fmac_f64_e32 v[22:23], v[22:23], v[12:13]
	v_fma_f64 v[12:13], -v[20:21], v[22:23], 1.0
	v_fmac_f64_e32 v[22:23], v[22:23], v[12:13]
	ds_read2st64_b64 v[12:15], v2 offset0:16 offset1:32
	v_mul_f64 v[26:27], v[24:25], v[22:23]
	v_fma_f64 v[20:21], -v[20:21], v[26:27], v[24:25]
	v_div_fmas_f64 v[20:21], v[20:21], v[22:23], v[26:27]
	v_div_fixup_f64 v[4:5], v[20:21], v[8:9], v[4:5]
	s_waitcnt lgkmcnt(0)
	v_div_scale_f64 v[24:25], s[2:3], v[18:19], v[18:19], v[12:13]
	v_rcp_f64_e32 v[28:29], v[24:25]
	v_fma_f64 v[6:7], -v[4:5], v[10:11], v[6:7]
	v_fma_f64 v[8:9], -v[24:25], v[28:29], 1.0
	v_fmac_f64_e32 v[28:29], v[28:29], v[8:9]
	v_fma_f64 v[8:9], -v[24:25], v[28:29], 1.0
	v_fmac_f64_e32 v[28:29], v[28:29], v[8:9]
	v_div_scale_f64 v[8:9], vcc, v[12:13], v[18:19], v[12:13]
	v_mul_f64 v[20:21], v[8:9], v[28:29]
	v_fma_f64 v[8:9], -v[24:25], v[20:21], v[8:9]
	s_nop 1
	v_div_fmas_f64 v[8:9], v[8:9], v[28:29], v[20:21]
	v_div_fixup_f64 v[8:9], v[8:9], v[18:19], v[12:13]
	ds_read_b64 v[12:13], v3 offset:16128
	ds_read2st64_b64 v[18:21], v31 offset0:16 offset1:32
	ds_read_b64 v[22:23], v30
	v_fma_f64 v[6:7], -v[8:9], v[16:17], v[6:7]
	v_max_u32_e32 v3, 64, v0
	s_waitcnt lgkmcnt(2)
	v_fma_f64 v[10:11], -v[4:5], v[12:13], v[14:15]
	s_waitcnt lgkmcnt(1)
	v_fma_f64 v[10:11], -v[8:9], v[20:21], v[10:11]
	s_waitcnt lgkmcnt(0)
	v_mul_f64 v[4:5], v[4:5], -v[22:23]
	v_mul_f64 v[8:9], v[8:9], -v[18:19]
	s_barrier
	ds_write2st64_b64 v2, v[4:5], v[6:7] offset1:8
	ds_write2st64_b64 v2, v[8:9], v[10:11] offset0:16 offset1:32
	s_waitcnt lgkmcnt(0)
	s_barrier
	v_lshlrev_b32_e32 v3, 3, v3
	ds_read2st64_b64 v[4:7], v2 offset1:8
	ds_read2st64_b64 v[8:11], v3 offset0:7 offset1:15
	v_min_u32_e32 v16, 0x1bf, v0
	v_lshlrev_b32_e32 v31, 3, v16
	ds_read2st64_b64 v[16:19], v31 offset0:1 offset1:9
	v_add_u32_e32 v30, 0xfffffe00, v3
	s_waitcnt lgkmcnt(1)
	v_div_scale_f64 v[20:21], s[2:3], v[8:9], v[8:9], v[4:5]
	v_rcp_f64_e32 v[22:23], v[20:21]
	v_div_scale_f64 v[24:25], vcc, v[4:5], v[8:9], v[4:5]
	v_fma_f64 v[12:13], -v[20:21], v[22:23], 1.0
	v_fmac_f64_e32 v[22:23], v[22:23], v[12:13]
	v_fma_f64 v[12:13], -v[20:21], v[22:23], 1.0
	v_fmac_f64_e32 v[22:23], v[22:23], v[12:13]
	ds_read2st64_b64 v[12:15], v2 offset0:16 offset1:32
	v_mul_f64 v[26:27], v[24:25], v[22:23]
	v_fma_f64 v[20:21], -v[20:21], v[26:27], v[24:25]
	v_div_fmas_f64 v[20:21], v[20:21], v[22:23], v[26:27]
	v_div_fixup_f64 v[4:5], v[20:21], v[8:9], v[4:5]
	s_waitcnt lgkmcnt(0)
	v_div_scale_f64 v[24:25], s[2:3], v[18:19], v[18:19], v[12:13]
	v_rcp_f64_e32 v[28:29], v[24:25]
	v_fma_f64 v[6:7], -v[4:5], v[10:11], v[6:7]
	v_fma_f64 v[8:9], -v[24:25], v[28:29], 1.0
	v_fmac_f64_e32 v[28:29], v[28:29], v[8:9]
	v_fma_f64 v[8:9], -v[24:25], v[28:29], 1.0
	v_fmac_f64_e32 v[28:29], v[28:29], v[8:9]
	v_div_scale_f64 v[8:9], vcc, v[12:13], v[18:19], v[12:13]
	v_mul_f64 v[20:21], v[8:9], v[28:29]
	v_fma_f64 v[8:9], -v[24:25], v[20:21], v[8:9]
	s_nop 1
	v_div_fmas_f64 v[8:9], v[8:9], v[28:29], v[20:21]
	v_div_fixup_f64 v[8:9], v[8:9], v[18:19], v[12:13]
	ds_read_b64 v[12:13], v3 offset:15872
	ds_read2st64_b64 v[18:21], v31 offset0:17 offset1:33
	ds_read_b64 v[22:23], v30
	v_fma_f64 v[6:7], -v[8:9], v[16:17], v[6:7]
	v_max_u32_e32 v3, 0x80, v0
	s_waitcnt lgkmcnt(2)
	v_fma_f64 v[10:11], -v[4:5], v[12:13], v[14:15]
	s_waitcnt lgkmcnt(1)
	v_fma_f64 v[10:11], -v[8:9], v[20:21], v[10:11]
	s_waitcnt lgkmcnt(0)
	v_mul_f64 v[4:5], v[4:5], -v[22:23]
	v_mul_f64 v[8:9], v[8:9], -v[18:19]
	s_barrier
	ds_write2st64_b64 v2, v[4:5], v[6:7] offset1:8
	ds_write2st64_b64 v2, v[8:9], v[10:11] offset0:16 offset1:32
	s_waitcnt lgkmcnt(0)
	s_barrier
	v_lshlrev_b32_e32 v3, 3, v3
	ds_read2st64_b64 v[4:7], v2 offset1:8
	ds_read2st64_b64 v[8:11], v3 offset0:6 offset1:14
	v_min_u32_e32 v16, 0x17f, v0
	v_lshlrev_b32_e32 v31, 3, v16
	ds_read2st64_b64 v[16:19], v31 offset0:2 offset1:10
	v_add_u32_e32 v30, 0xfffffc00, v3
	s_waitcnt lgkmcnt(1)
	v_div_scale_f64 v[20:21], s[2:3], v[8:9], v[8:9], v[4:5]
	v_rcp_f64_e32 v[22:23], v[20:21]
	v_div_scale_f64 v[24:25], vcc, v[4:5], v[8:9], v[4:5]
	v_fma_f64 v[12:13], -v[20:21], v[22:23], 1.0
	v_fmac_f64_e32 v[22:23], v[22:23], v[12:13]
	v_fma_f64 v[12:13], -v[20:21], v[22:23], 1.0
	v_fmac_f64_e32 v[22:23], v[22:23], v[12:13]
	ds_read2st64_b64 v[12:15], v2 offset0:16 offset1:32
	v_mul_f64 v[26:27], v[24:25], v[22:23]
	v_fma_f64 v[20:21], -v[20:21], v[26:27], v[24:25]
	v_div_fmas_f64 v[20:21], v[20:21], v[22:23], v[26:27]
	v_div_fixup_f64 v[4:5], v[20:21], v[8:9], v[4:5]
	s_waitcnt lgkmcnt(0)
	v_div_scale_f64 v[24:25], s[2:3], v[18:19], v[18:19], v[12:13]
	v_rcp_f64_e32 v[28:29], v[24:25]
	v_fma_f64 v[6:7], -v[4:5], v[10:11], v[6:7]
	v_fma_f64 v[8:9], -v[24:25], v[28:29], 1.0
	v_fmac_f64_e32 v[28:29], v[28:29], v[8:9]
	v_fma_f64 v[8:9], -v[24:25], v[28:29], 1.0
	v_fmac_f64_e32 v[28:29], v[28:29], v[8:9]
	v_div_scale_f64 v[8:9], vcc, v[12:13], v[18:19], v[12:13]
	v_mul_f64 v[20:21], v[8:9], v[28:29]
	v_fma_f64 v[8:9], -v[24:25], v[20:21], v[8:9]
	s_nop 1
	v_div_fmas_f64 v[8:9], v[8:9], v[28:29], v[20:21]
	v_div_fixup_f64 v[8:9], v[8:9], v[18:19], v[12:13]
	ds_read_b64 v[12:13], v3 offset:15360
	ds_read2st64_b64 v[18:21], v31 offset0:18 offset1:34
	ds_read_b64 v[22:23], v30
	v_fma_f64 v[6:7], -v[8:9], v[16:17], v[6:7]
	v_cmp_gt_u32_e32 vcc, s6, v0
	s_waitcnt lgkmcnt(2)
	v_fma_f64 v[10:11], -v[4:5], v[12:13], v[14:15]
	s_waitcnt lgkmcnt(1)
	v_fma_f64 v[10:11], -v[8:9], v[20:21], v[10:11]
	s_waitcnt lgkmcnt(0)
	v_mul_f64 v[4:5], v[4:5], -v[22:23]
	v_mul_f64 v[8:9], v[8:9], -v[18:19]
	s_barrier
	ds_write2st64_b64 v2, v[4:5], v[6:7] offset1:8
	ds_write2st64_b64 v2, v[8:9], v[10:11] offset0:16 offset1:32
	s_waitcnt lgkmcnt(0)
	s_barrier
	s_and_saveexec_b64 s[2:3], vcc
	s_cbranch_execz .LBB41_2
; %bb.1:
	v_or_b32_e32 v3, 0x2000, v2
	v_or_b32_e32 v0, 0x1000, v2
	ds_read_b64 v[12:13], v3
	ds_read_b64 v[14:15], v2 offset:2048
	ds_read2st64_b64 v[4:7], v0 offset1:4
	v_or_b32_e32 v0, 0x4000, v2
	s_waitcnt lgkmcnt(1)
	v_mul_f64 v[8:9], v[12:13], v[14:15]
	s_waitcnt lgkmcnt(0)
	v_fma_f64 v[16:17], v[6:7], v[4:5], -v[8:9]
	v_div_scale_f64 v[18:19], s[8:9], v[16:17], v[16:17], 1.0
	v_rcp_f64_e32 v[20:21], v[18:19]
	v_div_scale_f64 v[22:23], vcc, 1.0, v[16:17], 1.0
	v_fma_f64 v[8:9], -v[18:19], v[20:21], 1.0
	v_fmac_f64_e32 v[20:21], v[20:21], v[8:9]
	v_fma_f64 v[8:9], -v[18:19], v[20:21], 1.0
	v_fmac_f64_e32 v[20:21], v[20:21], v[8:9]
	ds_read2st64_b64 v[8:11], v0 offset1:4
	v_mul_f64 v[24:25], v[22:23], v[20:21]
	v_fma_f64 v[18:19], -v[18:19], v[24:25], v[22:23]
	v_div_fmas_f64 v[18:19], v[18:19], v[20:21], v[24:25]
	v_div_fixup_f64 v[16:17], v[18:19], v[16:17], 1.0
	s_waitcnt lgkmcnt(0)
	v_mul_f64 v[12:13], v[12:13], v[10:11]
	v_fma_f64 v[6:7], v[6:7], v[8:9], -v[12:13]
	v_mul_f64 v[8:9], v[14:15], v[8:9]
	v_fma_f64 v[4:5], v[4:5], v[10:11], -v[8:9]
	v_mul_f64 v[6:7], v[16:17], v[6:7]
	v_mul_f64 v[4:5], v[16:17], v[4:5]
	ds_write2st64_b64 v2, v[6:7], v[4:5] offset0:24 offset1:28
.LBB41_2:
	s_or_b64 exec, exec, s[2:3]
	s_waitcnt lgkmcnt(0)
	s_barrier
	s_and_saveexec_b64 s[2:3], s[0:1]
	s_cbranch_execz .LBB41_4
; %bb.3:
	s_load_dword s2, s[4:5], 0x8
	s_load_dwordx2 s[0:1], s[4:5], 0x30
	ds_read_b64 v[2:3], v2 offset:12288
	v_mov_b32_e32 v5, 0
	s_waitcnt lgkmcnt(0)
	s_mul_i32 s7, s7, s2
	v_add_u32_e32 v4, s7, v1
	v_lshlrev_b64 v[0:1], 3, v[4:5]
	v_mov_b32_e32 v6, s1
	v_add_co_u32_e32 v0, vcc, s0, v0
	v_addc_co_u32_e32 v1, vcc, v6, v1, vcc
	global_store_dwordx2 v[0:1], v[2:3], off
.LBB41_4:
	s_endpgm
	.section	.rodata,"a",@progbits
	.p2align	6, 0x0
	.amdhsa_kernel _ZN9rocsparseL44gtsv_nopivot_strided_batch_pcr_stage2_kernelILj512EdEEviiiPKT0_S3_S3_S3_PS1_
		.amdhsa_group_segment_fixed_size 20480
		.amdhsa_private_segment_fixed_size 0
		.amdhsa_kernarg_size 312
		.amdhsa_user_sgpr_count 6
		.amdhsa_user_sgpr_private_segment_buffer 1
		.amdhsa_user_sgpr_dispatch_ptr 0
		.amdhsa_user_sgpr_queue_ptr 0
		.amdhsa_user_sgpr_kernarg_segment_ptr 1
		.amdhsa_user_sgpr_dispatch_id 0
		.amdhsa_user_sgpr_flat_scratch_init 0
		.amdhsa_user_sgpr_kernarg_preload_length 0
		.amdhsa_user_sgpr_kernarg_preload_offset 0
		.amdhsa_user_sgpr_private_segment_size 0
		.amdhsa_uses_dynamic_stack 0
		.amdhsa_system_sgpr_private_segment_wavefront_offset 0
		.amdhsa_system_sgpr_workgroup_id_x 1
		.amdhsa_system_sgpr_workgroup_id_y 1
		.amdhsa_system_sgpr_workgroup_id_z 0
		.amdhsa_system_sgpr_workgroup_info 0
		.amdhsa_system_vgpr_workitem_id 0
		.amdhsa_next_free_vgpr 48
		.amdhsa_next_free_sgpr 16
		.amdhsa_accum_offset 48
		.amdhsa_reserve_vcc 1
		.amdhsa_reserve_flat_scratch 0
		.amdhsa_float_round_mode_32 0
		.amdhsa_float_round_mode_16_64 0
		.amdhsa_float_denorm_mode_32 3
		.amdhsa_float_denorm_mode_16_64 3
		.amdhsa_dx10_clamp 1
		.amdhsa_ieee_mode 1
		.amdhsa_fp16_overflow 0
		.amdhsa_tg_split 0
		.amdhsa_exception_fp_ieee_invalid_op 0
		.amdhsa_exception_fp_denorm_src 0
		.amdhsa_exception_fp_ieee_div_zero 0
		.amdhsa_exception_fp_ieee_overflow 0
		.amdhsa_exception_fp_ieee_underflow 0
		.amdhsa_exception_fp_ieee_inexact 0
		.amdhsa_exception_int_div_zero 0
	.end_amdhsa_kernel
	.section	.text._ZN9rocsparseL44gtsv_nopivot_strided_batch_pcr_stage2_kernelILj512EdEEviiiPKT0_S3_S3_S3_PS1_,"axG",@progbits,_ZN9rocsparseL44gtsv_nopivot_strided_batch_pcr_stage2_kernelILj512EdEEviiiPKT0_S3_S3_S3_PS1_,comdat
.Lfunc_end41:
	.size	_ZN9rocsparseL44gtsv_nopivot_strided_batch_pcr_stage2_kernelILj512EdEEviiiPKT0_S3_S3_S3_PS1_, .Lfunc_end41-_ZN9rocsparseL44gtsv_nopivot_strided_batch_pcr_stage2_kernelILj512EdEEviiiPKT0_S3_S3_S3_PS1_
                                        ; -- End function
	.section	.AMDGPU.csdata,"",@progbits
; Kernel info:
; codeLenInByte = 3284
; NumSgprs: 20
; NumVgprs: 48
; NumAgprs: 0
; TotalNumVgprs: 48
; ScratchSize: 0
; MemoryBound: 1
; FloatMode: 240
; IeeeMode: 1
; LDSByteSize: 20480 bytes/workgroup (compile time only)
; SGPRBlocks: 2
; VGPRBlocks: 5
; NumSGPRsForWavesPerEU: 20
; NumVGPRsForWavesPerEU: 48
; AccumOffset: 48
; Occupancy: 6
; WaveLimiterHint : 1
; COMPUTE_PGM_RSRC2:SCRATCH_EN: 0
; COMPUTE_PGM_RSRC2:USER_SGPR: 6
; COMPUTE_PGM_RSRC2:TRAP_HANDLER: 0
; COMPUTE_PGM_RSRC2:TGID_X_EN: 1
; COMPUTE_PGM_RSRC2:TGID_Y_EN: 1
; COMPUTE_PGM_RSRC2:TGID_Z_EN: 0
; COMPUTE_PGM_RSRC2:TIDIG_COMP_CNT: 0
; COMPUTE_PGM_RSRC3_GFX90A:ACCUM_OFFSET: 11
; COMPUTE_PGM_RSRC3_GFX90A:TG_SPLIT: 0
	.section	.text._ZN9rocsparseL49gtsv_nopivot_strided_batch_pcr_pow2_shared_kernelILj2E21rocsparse_complex_numIfEEEviiiPKT0_S5_S5_PS3_,"axG",@progbits,_ZN9rocsparseL49gtsv_nopivot_strided_batch_pcr_pow2_shared_kernelILj2E21rocsparse_complex_numIfEEEviiiPKT0_S5_S5_PS3_,comdat
	.globl	_ZN9rocsparseL49gtsv_nopivot_strided_batch_pcr_pow2_shared_kernelILj2E21rocsparse_complex_numIfEEEviiiPKT0_S5_S5_PS3_ ; -- Begin function _ZN9rocsparseL49gtsv_nopivot_strided_batch_pcr_pow2_shared_kernelILj2E21rocsparse_complex_numIfEEEviiiPKT0_S5_S5_PS3_
	.p2align	8
	.type	_ZN9rocsparseL49gtsv_nopivot_strided_batch_pcr_pow2_shared_kernelILj2E21rocsparse_complex_numIfEEEviiiPKT0_S5_S5_PS3_,@function
_ZN9rocsparseL49gtsv_nopivot_strided_batch_pcr_pow2_shared_kernelILj2E21rocsparse_complex_numIfEEEviiiPKT0_S5_S5_PS3_: ; @_ZN9rocsparseL49gtsv_nopivot_strided_batch_pcr_pow2_shared_kernelILj2E21rocsparse_complex_numIfEEEviiiPKT0_S5_S5_PS3_
; %bb.0:
	s_load_dword s0, s[4:5], 0x8
	s_load_dwordx8 s[8:15], s[4:5], 0x10
	s_waitcnt lgkmcnt(0)
	s_mul_i32 s6, s6, s0
	v_add_u32_e32 v2, s6, v0
	v_ashrrev_i32_e32 v3, 31, v2
	v_lshlrev_b64 v[2:3], 3, v[2:3]
	v_mov_b32_e32 v1, s9
	v_add_co_u32_e32 v4, vcc, s8, v2
	v_addc_co_u32_e32 v5, vcc, v1, v3, vcc
	v_mov_b32_e32 v1, s11
	v_add_co_u32_e32 v6, vcc, s10, v2
	v_addc_co_u32_e32 v7, vcc, v1, v3, vcc
	;; [unrolled: 3-line block ×3, first 2 shown]
	v_mov_b32_e32 v1, s15
	v_add_co_u32_e32 v2, vcc, s14, v2
	global_load_dwordx2 v[4:5], v[4:5], off
	v_addc_co_u32_e32 v3, vcc, v1, v3, vcc
	global_load_dwordx2 v[6:7], v[6:7], off
	v_lshlrev_b32_e32 v1, 3, v0
	global_load_dwordx2 v[8:9], v[8:9], off
	v_cmp_eq_u32_e32 vcc, 0, v0
	global_load_dwordx2 v[10:11], v[2:3], off
	s_waitcnt vmcnt(2)
	ds_write2_b64 v1, v[4:5], v[6:7] offset1:4
	s_waitcnt vmcnt(0)
	ds_write2_b64 v1, v[8:9], v[10:11] offset0:8 offset1:16
	s_waitcnt lgkmcnt(0)
	; wave barrier
	s_waitcnt lgkmcnt(0)
	s_and_saveexec_b64 s[0:1], vcc
	s_cbranch_execz .LBB42_2
; %bb.1:
	v_or_b32_e32 v10, 64, v1
	v_mov_b32_e32 v24, 0
	v_or_b32_e32 v0, 32, v1
	ds_read2_b64 v[4:7], v24 offset0:1 offset1:5
	ds_read_b64 v[8:9], v0
	ds_read_b64 v[10:11], v10
	ds_read2_b32 v[12:13], v24 offset0:3 offset1:4
	v_or_b32_e32 v0, 0x80, v1
	ds_read_b64 v[14:15], v0
	s_waitcnt lgkmcnt(3)
	v_pk_mul_f32 v[16:17], v[8:9], v[6:7] op_sel:[1,1] op_sel_hi:[1,0] neg_lo:[0,1]
	v_pk_fma_f32 v[16:17], v[6:7], v[8:9], v[16:17] op_sel_hi:[1,0,1]
	s_waitcnt lgkmcnt(1)
	v_pk_mul_f32 v[18:19], v[12:13], v[10:11] op_sel:[0,1] op_sel_hi:[0,0] neg_lo:[0,1]
	v_pk_fma_f32 v[18:19], v[10:11], v[4:5], v[18:19] op_sel_hi:[1,0,1]
	v_pk_add_f32 v[16:17], v[16:17], v[18:19] neg_lo:[0,1] neg_hi:[0,1]
	v_mul_f32_e32 v0, v17, v17
	v_fmac_f32_e32 v0, v16, v16
	v_div_scale_f32 v22, s[2:3], v0, v0, 1.0
	v_rcp_f32_e32 v23, v22
	ds_read_b64 v[18:19], v24 offset:136
	ds_read2_b32 v[20:21], v24 offset0:35 offset1:36
	v_fma_f32 v25, -v22, v23, 1.0
	v_fmac_f32_e32 v23, v25, v23
	v_div_scale_f32 v25, vcc, 1.0, v0, 1.0
	v_mul_f32_e32 v26, v25, v23
	v_fma_f32 v27, -v22, v26, v25
	v_fmac_f32_e32 v26, v27, v23
	v_fma_f32 v22, -v22, v26, v25
	v_div_fmas_f32 v22, v22, v23, v26
	v_div_fixup_f32 v22, v22, v0, 1.0
	v_fma_f32 v0, 0, v17, v16
	v_fma_f32 v16, v16, 0, -v17
	v_mul_f32_e32 v0, v0, v22
	v_mul_f32_e32 v16, v16, v22
	s_waitcnt lgkmcnt(2)
	v_pk_mul_f32 v[22:23], v[14:15], v[6:7] op_sel:[1,1] op_sel_hi:[1,0] neg_lo:[0,1]
	s_waitcnt lgkmcnt(0)
	v_pk_mul_f32 v[20:21], v[20:21], v[10:11] op_sel:[0,1] op_sel_hi:[0,0] neg_lo:[0,1]
	v_pk_fma_f32 v[6:7], v[6:7], v[14:15], v[22:23] op_sel_hi:[1,0,1]
	v_pk_fma_f32 v[10:11], v[10:11], v[18:19], v[20:21] op_sel_hi:[1,0,1]
	v_pk_add_f32 v[6:7], v[6:7], v[10:11] neg_lo:[0,1] neg_hi:[0,1]
	v_pk_mul_f32 v[10:11], v[16:17], v[6:7] op_sel:[0,1] op_sel_hi:[0,0] neg_lo:[0,1]
	v_pk_fma_f32 v[6:7], v[6:7], v[0:1], v[10:11] op_sel_hi:[1,0,1]
	v_pk_mul_f32 v[10:11], v[8:9], v[18:19] op_sel:[1,1] op_sel_hi:[1,0] neg_lo:[0,1]
	v_pk_fma_f32 v[8:9], v[18:19], v[8:9], v[10:11] op_sel_hi:[1,0,1]
	;; [unrolled: 2-line block ×3, first 2 shown]
	v_pk_add_f32 v[4:5], v[8:9], v[4:5] neg_lo:[0,1] neg_hi:[0,1]
	v_pk_mul_f32 v[8:9], v[16:17], v[4:5] op_sel:[0,1] op_sel_hi:[0,0] neg_lo:[0,1]
	v_pk_fma_f32 v[8:9], v[4:5], v[0:1], v[8:9] op_sel_hi:[1,0,1]
	ds_write_b128 v24, v[6:9] offset:96
.LBB42_2:
	s_or_b64 exec, exec, s[0:1]
	s_waitcnt lgkmcnt(0)
	; wave barrier
	s_waitcnt lgkmcnt(0)
	ds_read_b64 v[0:1], v1 offset:96
	s_waitcnt lgkmcnt(0)
	global_store_dwordx2 v[2:3], v[0:1], off
	s_endpgm
	.section	.rodata,"a",@progbits
	.p2align	6, 0x0
	.amdhsa_kernel _ZN9rocsparseL49gtsv_nopivot_strided_batch_pcr_pow2_shared_kernelILj2E21rocsparse_complex_numIfEEEviiiPKT0_S5_S5_PS3_
		.amdhsa_group_segment_fixed_size 152
		.amdhsa_private_segment_fixed_size 0
		.amdhsa_kernarg_size 48
		.amdhsa_user_sgpr_count 6
		.amdhsa_user_sgpr_private_segment_buffer 1
		.amdhsa_user_sgpr_dispatch_ptr 0
		.amdhsa_user_sgpr_queue_ptr 0
		.amdhsa_user_sgpr_kernarg_segment_ptr 1
		.amdhsa_user_sgpr_dispatch_id 0
		.amdhsa_user_sgpr_flat_scratch_init 0
		.amdhsa_user_sgpr_kernarg_preload_length 0
		.amdhsa_user_sgpr_kernarg_preload_offset 0
		.amdhsa_user_sgpr_private_segment_size 0
		.amdhsa_uses_dynamic_stack 0
		.amdhsa_system_sgpr_private_segment_wavefront_offset 0
		.amdhsa_system_sgpr_workgroup_id_x 1
		.amdhsa_system_sgpr_workgroup_id_y 0
		.amdhsa_system_sgpr_workgroup_id_z 0
		.amdhsa_system_sgpr_workgroup_info 0
		.amdhsa_system_vgpr_workitem_id 0
		.amdhsa_next_free_vgpr 28
		.amdhsa_next_free_sgpr 16
		.amdhsa_accum_offset 28
		.amdhsa_reserve_vcc 1
		.amdhsa_reserve_flat_scratch 0
		.amdhsa_float_round_mode_32 0
		.amdhsa_float_round_mode_16_64 0
		.amdhsa_float_denorm_mode_32 3
		.amdhsa_float_denorm_mode_16_64 3
		.amdhsa_dx10_clamp 1
		.amdhsa_ieee_mode 1
		.amdhsa_fp16_overflow 0
		.amdhsa_tg_split 0
		.amdhsa_exception_fp_ieee_invalid_op 0
		.amdhsa_exception_fp_denorm_src 0
		.amdhsa_exception_fp_ieee_div_zero 0
		.amdhsa_exception_fp_ieee_overflow 0
		.amdhsa_exception_fp_ieee_underflow 0
		.amdhsa_exception_fp_ieee_inexact 0
		.amdhsa_exception_int_div_zero 0
	.end_amdhsa_kernel
	.section	.text._ZN9rocsparseL49gtsv_nopivot_strided_batch_pcr_pow2_shared_kernelILj2E21rocsparse_complex_numIfEEEviiiPKT0_S5_S5_PS3_,"axG",@progbits,_ZN9rocsparseL49gtsv_nopivot_strided_batch_pcr_pow2_shared_kernelILj2E21rocsparse_complex_numIfEEEviiiPKT0_S5_S5_PS3_,comdat
.Lfunc_end42:
	.size	_ZN9rocsparseL49gtsv_nopivot_strided_batch_pcr_pow2_shared_kernelILj2E21rocsparse_complex_numIfEEEviiiPKT0_S5_S5_PS3_, .Lfunc_end42-_ZN9rocsparseL49gtsv_nopivot_strided_batch_pcr_pow2_shared_kernelILj2E21rocsparse_complex_numIfEEEviiiPKT0_S5_S5_PS3_
                                        ; -- End function
	.section	.AMDGPU.csdata,"",@progbits
; Kernel info:
; codeLenInByte = 560
; NumSgprs: 20
; NumVgprs: 28
; NumAgprs: 0
; TotalNumVgprs: 28
; ScratchSize: 0
; MemoryBound: 0
; FloatMode: 240
; IeeeMode: 1
; LDSByteSize: 152 bytes/workgroup (compile time only)
; SGPRBlocks: 2
; VGPRBlocks: 3
; NumSGPRsForWavesPerEU: 20
; NumVGPRsForWavesPerEU: 28
; AccumOffset: 28
; Occupancy: 8
; WaveLimiterHint : 0
; COMPUTE_PGM_RSRC2:SCRATCH_EN: 0
; COMPUTE_PGM_RSRC2:USER_SGPR: 6
; COMPUTE_PGM_RSRC2:TRAP_HANDLER: 0
; COMPUTE_PGM_RSRC2:TGID_X_EN: 1
; COMPUTE_PGM_RSRC2:TGID_Y_EN: 0
; COMPUTE_PGM_RSRC2:TGID_Z_EN: 0
; COMPUTE_PGM_RSRC2:TIDIG_COMP_CNT: 0
; COMPUTE_PGM_RSRC3_GFX90A:ACCUM_OFFSET: 6
; COMPUTE_PGM_RSRC3_GFX90A:TG_SPLIT: 0
	.section	.text._ZN9rocsparseL49gtsv_nopivot_strided_batch_pcr_pow2_shared_kernelILj4E21rocsparse_complex_numIfEEEviiiPKT0_S5_S5_PS3_,"axG",@progbits,_ZN9rocsparseL49gtsv_nopivot_strided_batch_pcr_pow2_shared_kernelILj4E21rocsparse_complex_numIfEEEviiiPKT0_S5_S5_PS3_,comdat
	.globl	_ZN9rocsparseL49gtsv_nopivot_strided_batch_pcr_pow2_shared_kernelILj4E21rocsparse_complex_numIfEEEviiiPKT0_S5_S5_PS3_ ; -- Begin function _ZN9rocsparseL49gtsv_nopivot_strided_batch_pcr_pow2_shared_kernelILj4E21rocsparse_complex_numIfEEEviiiPKT0_S5_S5_PS3_
	.p2align	8
	.type	_ZN9rocsparseL49gtsv_nopivot_strided_batch_pcr_pow2_shared_kernelILj4E21rocsparse_complex_numIfEEEviiiPKT0_S5_S5_PS3_,@function
_ZN9rocsparseL49gtsv_nopivot_strided_batch_pcr_pow2_shared_kernelILj4E21rocsparse_complex_numIfEEEviiiPKT0_S5_S5_PS3_: ; @_ZN9rocsparseL49gtsv_nopivot_strided_batch_pcr_pow2_shared_kernelILj4E21rocsparse_complex_numIfEEEviiiPKT0_S5_S5_PS3_
; %bb.0:
	s_load_dword s0, s[4:5], 0x8
	s_load_dwordx8 s[8:15], s[4:5], 0x10
	v_max_u32_e32 v13, 1, v0
	v_min_u32_e32 v12, 2, v0
	v_lshlrev_b32_e32 v24, 3, v13
	s_waitcnt lgkmcnt(0)
	s_mul_i32 s6, s6, s0
	v_add_u32_e32 v2, s6, v0
	v_ashrrev_i32_e32 v3, 31, v2
	v_lshlrev_b64 v[2:3], 3, v[2:3]
	v_mov_b32_e32 v1, s9
	v_add_co_u32_e32 v4, vcc, s8, v2
	v_addc_co_u32_e32 v5, vcc, v1, v3, vcc
	v_mov_b32_e32 v1, s11
	v_add_co_u32_e32 v6, vcc, s10, v2
	v_addc_co_u32_e32 v7, vcc, v1, v3, vcc
	;; [unrolled: 3-line block ×3, first 2 shown]
	v_mov_b32_e32 v1, s15
	v_add_co_u32_e32 v2, vcc, s14, v2
	global_load_dwordx2 v[4:5], v[4:5], off
	v_addc_co_u32_e32 v3, vcc, v1, v3, vcc
	global_load_dwordx2 v[6:7], v[6:7], off
	v_lshlrev_b32_e32 v1, 3, v0
	global_load_dwordx2 v[8:9], v[8:9], off
	v_lshlrev_b32_e32 v20, 3, v12
	global_load_dwordx2 v[10:11], v[2:3], off
	v_add_u32_e32 v26, -8, v24
	s_waitcnt vmcnt(2)
	ds_write2_b64 v1, v[4:5], v[6:7] offset1:6
	s_waitcnt vmcnt(0)
	ds_write2_b64 v1, v[8:9], v[10:11] offset0:12 offset1:24
	s_waitcnt lgkmcnt(0)
	; wave barrier
	s_waitcnt lgkmcnt(0)
	ds_read2_b64 v[4:7], v1 offset1:6
	ds_read2_b64 v[8:11], v24 offset0:5 offset1:11
	ds_read2_b64 v[12:15], v1 offset0:12 offset1:24
	;; [unrolled: 1-line block ×4, first 2 shown]
	ds_read_b64 v[24:25], v24 offset:184
	ds_read_b64 v[26:27], v26
	s_waitcnt lgkmcnt(5)
	v_mul_f32_e32 v28, v9, v9
	v_mul_f32_e32 v29, v9, v5
	s_waitcnt lgkmcnt(3)
	v_mul_f32_e32 v30, v19, v19
	v_fmac_f32_e32 v28, v8, v8
	v_mul_f32_e64 v9, v9, -v4
	v_mul_f32_e32 v31, v19, v13
	v_fmac_f32_e32 v29, v4, v8
	v_fmac_f32_e32 v30, v18, v18
	v_div_scale_f32 v4, s[0:1], v28, v28, 1.0
	v_mul_f32_e64 v19, v19, -v12
	v_fmac_f32_e32 v9, v5, v8
	v_fmac_f32_e32 v31, v12, v18
	v_div_scale_f32 v8, s[0:1], v30, v30, 1.0
	v_rcp_f32_e32 v12, v4
	v_fmac_f32_e32 v19, v13, v18
	v_rcp_f32_e32 v13, v8
	v_div_scale_f32 v5, vcc, 1.0, v28, 1.0
	v_fma_f32 v32, -v4, v12, 1.0
	v_fma_f32 v33, -v8, v13, 1.0
	v_fmac_f32_e32 v12, v32, v12
	v_div_scale_f32 v18, s[0:1], 1.0, v30, 1.0
	v_fmac_f32_e32 v13, v33, v13
	v_mul_f32_e32 v32, v5, v12
	v_mul_f32_e32 v33, v18, v13
	v_fma_f32 v34, -v4, v32, v5
	v_fma_f32 v35, -v8, v33, v18
	v_fmac_f32_e32 v32, v34, v12
	v_fmac_f32_e32 v33, v35, v13
	v_fma_f32 v4, -v4, v32, v5
	v_fma_f32 v5, -v8, v33, v18
	v_div_fmas_f32 v4, v4, v12, v32
	s_mov_b64 vcc, s[0:1]
	v_div_fixup_f32 v8, v4, v28, 1.0
	v_div_fmas_f32 v5, v5, v13, v33
	v_mul_f32_e32 v4, v8, v29
	v_mul_f32_e32 v8, v9, v8
	v_div_fixup_f32 v5, v5, v30, 1.0
	v_mul_f32_e32 v12, v5, v31
	v_mul_f32_e32 v18, v19, v5
	s_waitcnt lgkmcnt(0)
	v_pk_mul_f32 v[28:29], v[8:9], v[26:27] op_sel:[0,1] op_sel_hi:[0,0] neg_hi:[0,1]
	v_pk_mul_f32 v[30:31], v[8:9], v[10:11] op_sel:[0,1] op_sel_hi:[0,0] neg_lo:[0,1]
	v_pk_mul_f32 v[8:9], v[8:9], v[24:25] op_sel:[0,1] op_sel_hi:[0,0] neg_lo:[0,1]
	v_pk_fma_f32 v[26:27], v[26:27], v[4:5], v[28:29] op_sel_hi:[1,0,1] neg_lo:[1,0,0] neg_hi:[1,0,0]
	v_pk_fma_f32 v[10:11], v[10:11], v[4:5], v[30:31] op_sel_hi:[1,0,1]
	v_pk_mul_f32 v[28:29], v[18:19], v[16:17] op_sel:[0,1] op_sel_hi:[0,0] neg_lo:[0,1]
	v_pk_fma_f32 v[4:5], v[24:25], v[4:5], v[8:9] op_sel_hi:[1,0,1]
	v_pk_mul_f32 v[8:9], v[18:19], v[22:23] op_sel:[0,1] op_sel_hi:[0,0] neg_lo:[0,1]
	v_pk_add_f32 v[6:7], v[6:7], v[10:11] neg_lo:[0,1] neg_hi:[0,1]
	v_pk_fma_f32 v[10:11], v[16:17], v[12:13], v[28:29] op_sel_hi:[1,0,1]
	v_pk_mul_f32 v[30:31], v[18:19], v[20:21] op_sel:[0,1] op_sel_hi:[0,0] neg_hi:[0,1]
	v_pk_add_f32 v[4:5], v[14:15], v[4:5] neg_lo:[0,1] neg_hi:[0,1]
	v_pk_fma_f32 v[8:9], v[22:23], v[12:13], v[8:9] op_sel_hi:[1,0,1]
	v_pk_add_f32 v[6:7], v[6:7], v[10:11] neg_lo:[0,1] neg_hi:[0,1]
	v_cmp_gt_u32_e32 vcc, 2, v0
	s_waitcnt lgkmcnt(0)
	; wave barrier
	v_pk_fma_f32 v[16:17], v[20:21], v[12:13], v[30:31] op_sel_hi:[1,0,1] neg_lo:[1,0,0] neg_hi:[1,0,0]
	v_pk_add_f32 v[4:5], v[4:5], v[8:9] neg_lo:[0,1] neg_hi:[0,1]
	ds_write2_b64 v1, v[26:27], v[6:7] offset1:6
	ds_write2_b64 v1, v[16:17], v[4:5] offset0:12 offset1:24
	s_waitcnt lgkmcnt(0)
	; wave barrier
	s_waitcnt lgkmcnt(0)
	s_and_saveexec_b64 s[0:1], vcc
	s_cbranch_execz .LBB43_2
; %bb.1:
	v_add_u32_e32 v0, 48, v1
	v_or_b32_e32 v8, 0x60, v1
	ds_read2_b64 v[4:7], v0 offset1:2
	ds_read_b64 v[12:13], v8
	ds_read_b64 v[14:15], v1 offset:16
	s_waitcnt lgkmcnt(2)
	v_pk_mul_f32 v[8:9], v[4:5], v[6:7] op_sel:[1,1] op_sel_hi:[1,0] neg_lo:[0,1]
	v_pk_fma_f32 v[8:9], v[6:7], v[4:5], v[8:9] op_sel_hi:[1,0,1]
	s_waitcnt lgkmcnt(0)
	v_pk_mul_f32 v[10:11], v[14:15], v[12:13] op_sel:[1,1] op_sel_hi:[1,0] neg_lo:[0,1]
	v_pk_fma_f32 v[10:11], v[12:13], v[14:15], v[10:11] op_sel_hi:[1,0,1]
	v_pk_add_f32 v[16:17], v[8:9], v[10:11] neg_lo:[0,1] neg_hi:[0,1]
	v_mul_f32_e32 v0, v17, v17
	v_fmac_f32_e32 v0, v16, v16
	v_div_scale_f32 v18, s[2:3], v0, v0, 1.0
	v_rcp_f32_e32 v19, v18
	v_or_b32_e32 v8, 0xc0, v1
	ds_read2_b64 v[8:11], v8 offset1:2
	v_fma_f32 v20, -v18, v19, 1.0
	v_fmac_f32_e32 v19, v20, v19
	v_div_scale_f32 v20, vcc, 1.0, v0, 1.0
	v_mul_f32_e32 v21, v20, v19
	v_fma_f32 v22, -v18, v21, v20
	v_fmac_f32_e32 v21, v22, v19
	v_fma_f32 v18, -v18, v21, v20
	v_div_fmas_f32 v18, v18, v19, v21
	v_div_fixup_f32 v18, v18, v0, 1.0
	v_fma_f32 v0, 0, v17, v16
	v_fma_f32 v16, v16, 0, -v17
	v_mul_f32_e32 v0, v0, v18
	v_mul_f32_e32 v16, v16, v18
	s_waitcnt lgkmcnt(0)
	v_pk_mul_f32 v[18:19], v[8:9], v[6:7] op_sel:[1,1] op_sel_hi:[1,0] neg_lo:[0,1]
	v_pk_fma_f32 v[6:7], v[6:7], v[8:9], v[18:19] op_sel_hi:[1,0,1]
	v_pk_mul_f32 v[18:19], v[10:11], v[12:13] op_sel:[1,1] op_sel_hi:[1,0] neg_lo:[0,1]
	v_pk_fma_f32 v[12:13], v[12:13], v[10:11], v[18:19] op_sel_hi:[1,0,1]
	v_pk_add_f32 v[6:7], v[6:7], v[12:13] neg_lo:[0,1] neg_hi:[0,1]
	v_pk_mul_f32 v[12:13], v[16:17], v[6:7] op_sel:[0,1] op_sel_hi:[0,0] neg_lo:[0,1]
	v_pk_fma_f32 v[6:7], v[6:7], v[0:1], v[12:13] op_sel_hi:[1,0,1]
	v_pk_mul_f32 v[12:13], v[4:5], v[10:11] op_sel:[1,1] op_sel_hi:[1,0] neg_lo:[0,1]
	v_pk_fma_f32 v[4:5], v[10:11], v[4:5], v[12:13] op_sel_hi:[1,0,1]
	;; [unrolled: 2-line block ×3, first 2 shown]
	v_pk_add_f32 v[4:5], v[4:5], v[8:9] neg_lo:[0,1] neg_hi:[0,1]
	v_pk_mul_f32 v[8:9], v[16:17], v[4:5] op_sel:[0,1] op_sel_hi:[0,0] neg_lo:[0,1]
	v_pk_fma_f32 v[4:5], v[4:5], v[0:1], v[8:9] op_sel_hi:[1,0,1]
	ds_write2_b64 v1, v[6:7], v[4:5] offset0:18 offset1:20
.LBB43_2:
	s_or_b64 exec, exec, s[0:1]
	s_waitcnt lgkmcnt(0)
	; wave barrier
	s_waitcnt lgkmcnt(0)
	ds_read_b64 v[0:1], v1 offset:144
	s_waitcnt lgkmcnt(0)
	global_store_dwordx2 v[2:3], v[0:1], off
	s_endpgm
	.section	.rodata,"a",@progbits
	.p2align	6, 0x0
	.amdhsa_kernel _ZN9rocsparseL49gtsv_nopivot_strided_batch_pcr_pow2_shared_kernelILj4E21rocsparse_complex_numIfEEEviiiPKT0_S5_S5_PS3_
		.amdhsa_group_segment_fixed_size 232
		.amdhsa_private_segment_fixed_size 0
		.amdhsa_kernarg_size 48
		.amdhsa_user_sgpr_count 6
		.amdhsa_user_sgpr_private_segment_buffer 1
		.amdhsa_user_sgpr_dispatch_ptr 0
		.amdhsa_user_sgpr_queue_ptr 0
		.amdhsa_user_sgpr_kernarg_segment_ptr 1
		.amdhsa_user_sgpr_dispatch_id 0
		.amdhsa_user_sgpr_flat_scratch_init 0
		.amdhsa_user_sgpr_kernarg_preload_length 0
		.amdhsa_user_sgpr_kernarg_preload_offset 0
		.amdhsa_user_sgpr_private_segment_size 0
		.amdhsa_uses_dynamic_stack 0
		.amdhsa_system_sgpr_private_segment_wavefront_offset 0
		.amdhsa_system_sgpr_workgroup_id_x 1
		.amdhsa_system_sgpr_workgroup_id_y 0
		.amdhsa_system_sgpr_workgroup_id_z 0
		.amdhsa_system_sgpr_workgroup_info 0
		.amdhsa_system_vgpr_workitem_id 0
		.amdhsa_next_free_vgpr 36
		.amdhsa_next_free_sgpr 16
		.amdhsa_accum_offset 36
		.amdhsa_reserve_vcc 1
		.amdhsa_reserve_flat_scratch 0
		.amdhsa_float_round_mode_32 0
		.amdhsa_float_round_mode_16_64 0
		.amdhsa_float_denorm_mode_32 3
		.amdhsa_float_denorm_mode_16_64 3
		.amdhsa_dx10_clamp 1
		.amdhsa_ieee_mode 1
		.amdhsa_fp16_overflow 0
		.amdhsa_tg_split 0
		.amdhsa_exception_fp_ieee_invalid_op 0
		.amdhsa_exception_fp_denorm_src 0
		.amdhsa_exception_fp_ieee_div_zero 0
		.amdhsa_exception_fp_ieee_overflow 0
		.amdhsa_exception_fp_ieee_underflow 0
		.amdhsa_exception_fp_ieee_inexact 0
		.amdhsa_exception_int_div_zero 0
	.end_amdhsa_kernel
	.section	.text._ZN9rocsparseL49gtsv_nopivot_strided_batch_pcr_pow2_shared_kernelILj4E21rocsparse_complex_numIfEEEviiiPKT0_S5_S5_PS3_,"axG",@progbits,_ZN9rocsparseL49gtsv_nopivot_strided_batch_pcr_pow2_shared_kernelILj4E21rocsparse_complex_numIfEEEviiiPKT0_S5_S5_PS3_,comdat
.Lfunc_end43:
	.size	_ZN9rocsparseL49gtsv_nopivot_strided_batch_pcr_pow2_shared_kernelILj4E21rocsparse_complex_numIfEEEviiiPKT0_S5_S5_PS3_, .Lfunc_end43-_ZN9rocsparseL49gtsv_nopivot_strided_batch_pcr_pow2_shared_kernelILj4E21rocsparse_complex_numIfEEEviiiPKT0_S5_S5_PS3_
                                        ; -- End function
	.section	.AMDGPU.csdata,"",@progbits
; Kernel info:
; codeLenInByte = 996
; NumSgprs: 20
; NumVgprs: 36
; NumAgprs: 0
; TotalNumVgprs: 36
; ScratchSize: 0
; MemoryBound: 0
; FloatMode: 240
; IeeeMode: 1
; LDSByteSize: 232 bytes/workgroup (compile time only)
; SGPRBlocks: 2
; VGPRBlocks: 4
; NumSGPRsForWavesPerEU: 20
; NumVGPRsForWavesPerEU: 36
; AccumOffset: 36
; Occupancy: 8
; WaveLimiterHint : 0
; COMPUTE_PGM_RSRC2:SCRATCH_EN: 0
; COMPUTE_PGM_RSRC2:USER_SGPR: 6
; COMPUTE_PGM_RSRC2:TRAP_HANDLER: 0
; COMPUTE_PGM_RSRC2:TGID_X_EN: 1
; COMPUTE_PGM_RSRC2:TGID_Y_EN: 0
; COMPUTE_PGM_RSRC2:TGID_Z_EN: 0
; COMPUTE_PGM_RSRC2:TIDIG_COMP_CNT: 0
; COMPUTE_PGM_RSRC3_GFX90A:ACCUM_OFFSET: 8
; COMPUTE_PGM_RSRC3_GFX90A:TG_SPLIT: 0
	.section	.text._ZN9rocsparseL49gtsv_nopivot_strided_batch_pcr_pow2_shared_kernelILj8E21rocsparse_complex_numIfEEEviiiPKT0_S5_S5_PS3_,"axG",@progbits,_ZN9rocsparseL49gtsv_nopivot_strided_batch_pcr_pow2_shared_kernelILj8E21rocsparse_complex_numIfEEEviiiPKT0_S5_S5_PS3_,comdat
	.globl	_ZN9rocsparseL49gtsv_nopivot_strided_batch_pcr_pow2_shared_kernelILj8E21rocsparse_complex_numIfEEEviiiPKT0_S5_S5_PS3_ ; -- Begin function _ZN9rocsparseL49gtsv_nopivot_strided_batch_pcr_pow2_shared_kernelILj8E21rocsparse_complex_numIfEEEviiiPKT0_S5_S5_PS3_
	.p2align	8
	.type	_ZN9rocsparseL49gtsv_nopivot_strided_batch_pcr_pow2_shared_kernelILj8E21rocsparse_complex_numIfEEEviiiPKT0_S5_S5_PS3_,@function
_ZN9rocsparseL49gtsv_nopivot_strided_batch_pcr_pow2_shared_kernelILj8E21rocsparse_complex_numIfEEEviiiPKT0_S5_S5_PS3_: ; @_ZN9rocsparseL49gtsv_nopivot_strided_batch_pcr_pow2_shared_kernelILj8E21rocsparse_complex_numIfEEEviiiPKT0_S5_S5_PS3_
; %bb.0:
	s_load_dword s0, s[4:5], 0x8
	s_load_dwordx8 s[8:15], s[4:5], 0x10
	v_max_u32_e32 v13, 1, v0
	v_min_u32_e32 v12, 6, v0
	v_lshlrev_b32_e32 v24, 3, v13
	s_waitcnt lgkmcnt(0)
	s_mul_i32 s6, s6, s0
	v_add_u32_e32 v2, s6, v0
	v_ashrrev_i32_e32 v3, 31, v2
	v_lshlrev_b64 v[2:3], 3, v[2:3]
	v_mov_b32_e32 v1, s9
	v_add_co_u32_e32 v4, vcc, s8, v2
	v_addc_co_u32_e32 v5, vcc, v1, v3, vcc
	v_mov_b32_e32 v1, s11
	v_add_co_u32_e32 v6, vcc, s10, v2
	v_addc_co_u32_e32 v7, vcc, v1, v3, vcc
	;; [unrolled: 3-line block ×3, first 2 shown]
	v_mov_b32_e32 v1, s15
	v_add_co_u32_e32 v2, vcc, s14, v2
	global_load_dwordx2 v[4:5], v[4:5], off
	v_addc_co_u32_e32 v3, vcc, v1, v3, vcc
	global_load_dwordx2 v[6:7], v[6:7], off
	v_lshlrev_b32_e32 v1, 3, v0
	global_load_dwordx2 v[8:9], v[8:9], off
	v_lshlrev_b32_e32 v20, 3, v12
	global_load_dwordx2 v[10:11], v[2:3], off
	v_add_u32_e32 v26, -8, v24
	v_max_u32_e32 v32, 2, v0
	s_waitcnt vmcnt(2)
	ds_write2_b64 v1, v[4:5], v[6:7] offset1:10
	s_waitcnt vmcnt(0)
	ds_write2_b64 v1, v[8:9], v[10:11] offset0:20 offset1:40
	s_waitcnt lgkmcnt(0)
	; wave barrier
	s_waitcnt lgkmcnt(0)
	ds_read2_b64 v[4:7], v1 offset1:10
	ds_read2_b64 v[8:11], v24 offset0:9 offset1:19
	ds_read2_b64 v[12:15], v1 offset0:20 offset1:40
	;; [unrolled: 1-line block ×4, first 2 shown]
	ds_read_b64 v[24:25], v24 offset:312
	ds_read_b64 v[26:27], v26
	s_waitcnt lgkmcnt(5)
	v_mul_f32_e32 v28, v9, v9
	v_mul_f32_e32 v29, v9, v5
	s_waitcnt lgkmcnt(3)
	v_mul_f32_e32 v30, v19, v19
	v_fmac_f32_e32 v28, v8, v8
	v_mul_f32_e64 v9, v9, -v4
	v_mul_f32_e32 v31, v19, v13
	v_fmac_f32_e32 v29, v4, v8
	v_fmac_f32_e32 v30, v18, v18
	v_div_scale_f32 v4, s[0:1], v28, v28, 1.0
	v_mul_f32_e64 v19, v19, -v12
	v_fmac_f32_e32 v9, v5, v8
	v_fmac_f32_e32 v31, v12, v18
	v_div_scale_f32 v8, s[0:1], v30, v30, 1.0
	v_rcp_f32_e32 v12, v4
	v_fmac_f32_e32 v19, v13, v18
	v_rcp_f32_e32 v13, v8
	v_div_scale_f32 v5, vcc, 1.0, v28, 1.0
	v_fma_f32 v33, -v4, v12, 1.0
	v_fma_f32 v34, -v8, v13, 1.0
	v_fmac_f32_e32 v12, v33, v12
	v_div_scale_f32 v18, s[0:1], 1.0, v30, 1.0
	v_fmac_f32_e32 v13, v34, v13
	v_mul_f32_e32 v33, v5, v12
	v_mul_f32_e32 v34, v18, v13
	v_fma_f32 v35, -v4, v33, v5
	v_fma_f32 v36, -v8, v34, v18
	v_fmac_f32_e32 v33, v35, v12
	v_fmac_f32_e32 v34, v36, v13
	v_fma_f32 v4, -v4, v33, v5
	v_fma_f32 v5, -v8, v34, v18
	v_div_fmas_f32 v4, v4, v12, v33
	s_mov_b64 vcc, s[0:1]
	v_div_fixup_f32 v8, v4, v28, 1.0
	v_div_fmas_f32 v5, v5, v13, v34
	v_mul_f32_e32 v4, v8, v29
	v_mul_f32_e32 v8, v9, v8
	v_div_fixup_f32 v5, v5, v30, 1.0
	v_mul_f32_e32 v12, v5, v31
	v_mul_f32_e32 v18, v19, v5
	s_waitcnt lgkmcnt(0)
	v_pk_mul_f32 v[28:29], v[8:9], v[26:27] op_sel:[0,1] op_sel_hi:[0,0] neg_hi:[0,1]
	v_pk_mul_f32 v[30:31], v[8:9], v[10:11] op_sel:[0,1] op_sel_hi:[0,0] neg_lo:[0,1]
	v_pk_mul_f32 v[8:9], v[8:9], v[24:25] op_sel:[0,1] op_sel_hi:[0,0] neg_lo:[0,1]
	v_pk_fma_f32 v[26:27], v[26:27], v[4:5], v[28:29] op_sel_hi:[1,0,1] neg_lo:[1,0,0] neg_hi:[1,0,0]
	v_pk_fma_f32 v[10:11], v[10:11], v[4:5], v[30:31] op_sel_hi:[1,0,1]
	v_pk_mul_f32 v[28:29], v[18:19], v[16:17] op_sel:[0,1] op_sel_hi:[0,0] neg_lo:[0,1]
	v_pk_fma_f32 v[4:5], v[24:25], v[4:5], v[8:9] op_sel_hi:[1,0,1]
	v_pk_mul_f32 v[8:9], v[18:19], v[22:23] op_sel:[0,1] op_sel_hi:[0,0] neg_lo:[0,1]
	v_pk_mul_f32 v[30:31], v[18:19], v[20:21] op_sel:[0,1] op_sel_hi:[0,0] neg_hi:[0,1]
	v_pk_add_f32 v[6:7], v[6:7], v[10:11] neg_lo:[0,1] neg_hi:[0,1]
	v_pk_fma_f32 v[10:11], v[16:17], v[12:13], v[28:29] op_sel_hi:[1,0,1]
	v_pk_add_f32 v[4:5], v[14:15], v[4:5] neg_lo:[0,1] neg_hi:[0,1]
	v_pk_fma_f32 v[8:9], v[22:23], v[12:13], v[8:9] op_sel_hi:[1,0,1]
	v_pk_fma_f32 v[16:17], v[20:21], v[12:13], v[30:31] op_sel_hi:[1,0,1] neg_lo:[1,0,0] neg_hi:[1,0,0]
	v_pk_add_f32 v[6:7], v[6:7], v[10:11] neg_lo:[0,1] neg_hi:[0,1]
	v_pk_add_f32 v[4:5], v[4:5], v[8:9] neg_lo:[0,1] neg_hi:[0,1]
	v_lshlrev_b32_e32 v21, 3, v32
	s_waitcnt lgkmcnt(0)
	; wave barrier
	ds_write2_b64 v1, v[26:27], v[6:7] offset1:10
	ds_write2_b64 v1, v[16:17], v[4:5] offset0:20 offset1:40
	s_waitcnt lgkmcnt(0)
	; wave barrier
	s_waitcnt lgkmcnt(0)
	ds_read2_b64 v[4:7], v21 offset0:8 offset1:18
	v_min_u32_e32 v15, 5, v0
	ds_read2_b64 v[8:11], v1 offset1:10
	v_lshlrev_b32_e32 v27, 3, v15
	v_add_u32_e32 v24, -16, v21
	s_waitcnt lgkmcnt(1)
	v_mul_f32_e32 v12, v5, v5
	v_fmac_f32_e32 v12, v4, v4
	v_div_scale_f32 v13, s[0:1], v12, v12, 1.0
	v_rcp_f32_e32 v14, v13
	v_fma_f32 v16, -v13, v14, 1.0
	v_fmac_f32_e32 v14, v16, v14
	v_div_scale_f32 v16, vcc, 1.0, v12, 1.0
	v_mul_f32_e32 v17, v16, v14
	v_fma_f32 v18, -v13, v17, v16
	v_fmac_f32_e32 v17, v18, v14
	v_fma_f32 v13, -v13, v17, v16
	v_div_fmas_f32 v13, v13, v14, v17
	v_div_fixup_f32 v16, v13, v12, 1.0
	ds_read2_b64 v[12:15], v27 offset0:2 offset1:12
	s_waitcnt lgkmcnt(1)
	v_mul_f32_e32 v17, v5, v9
	v_fmac_f32_e32 v17, v8, v4
	v_mul_f32_e64 v5, v5, -v8
	v_fmac_f32_e32 v5, v9, v4
	s_waitcnt lgkmcnt(0)
	v_mul_f32_e32 v8, v15, v15
	v_fmac_f32_e32 v8, v14, v14
	v_div_scale_f32 v22, s[0:1], v8, v8, 1.0
	v_rcp_f32_e32 v23, v22
	v_mul_f32_e32 v4, v5, v16
	v_mul_f32_e32 v20, v16, v17
	ds_read2_b64 v[16:19], v1 offset0:20 offset1:40
	v_fma_f32 v5, -v22, v23, 1.0
	v_fmac_f32_e32 v23, v5, v23
	v_div_scale_f32 v5, vcc, 1.0, v8, 1.0
	v_mul_f32_e32 v9, v5, v23
	v_fma_f32 v25, -v22, v9, v5
	v_fmac_f32_e32 v9, v25, v23
	v_fma_f32 v5, -v22, v9, v5
	v_div_fmas_f32 v5, v5, v23, v9
	ds_read_b64 v[22:23], v21 offset:304
	ds_read_b64 v[24:25], v24
	v_div_fixup_f32 v5, v5, v8, 1.0
	s_waitcnt lgkmcnt(2)
	v_mul_f32_e32 v8, v15, v17
	v_mul_f32_e64 v9, v15, -v16
	v_fmac_f32_e32 v8, v16, v14
	v_fmac_f32_e32 v9, v17, v14
	ds_read2_b64 v[14:17], v27 offset0:22 offset1:42
	s_waitcnt lgkmcnt(1)
	v_pk_mul_f32 v[28:29], v[4:5], v[24:25] op_sel:[0,1] op_sel_hi:[0,0] neg_hi:[0,1]
	v_pk_fma_f32 v[24:25], v[24:25], v[20:21], v[28:29] op_sel_hi:[1,0,1] neg_lo:[1,0,0] neg_hi:[1,0,0]
	v_pk_mul_f32 v[28:29], v[4:5], v[6:7] op_sel:[0,1] op_sel_hi:[0,0] neg_lo:[0,1]
	v_mul_f32_e32 v26, v9, v5
	v_pk_fma_f32 v[6:7], v[6:7], v[20:21], v[28:29] op_sel_hi:[1,0,1]
	v_mul_f32_e32 v8, v5, v8
	v_pk_add_f32 v[6:7], v[10:11], v[6:7] neg_lo:[0,1] neg_hi:[0,1]
	v_pk_mul_f32 v[10:11], v[26:27], v[12:13] op_sel:[0,1] op_sel_hi:[0,0] neg_lo:[0,1]
	v_pk_fma_f32 v[10:11], v[12:13], v[8:9], v[10:11] op_sel_hi:[1,0,1]
	v_pk_mul_f32 v[4:5], v[4:5], v[22:23] op_sel:[0,1] op_sel_hi:[0,0] neg_lo:[0,1]
	v_pk_add_f32 v[6:7], v[6:7], v[10:11] neg_lo:[0,1] neg_hi:[0,1]
	s_waitcnt lgkmcnt(0)
	v_pk_mul_f32 v[10:11], v[26:27], v[14:15] op_sel:[0,1] op_sel_hi:[0,0] neg_hi:[0,1]
	v_pk_fma_f32 v[4:5], v[22:23], v[20:21], v[4:5] op_sel_hi:[1,0,1]
	v_pk_mul_f32 v[12:13], v[26:27], v[16:17] op_sel:[0,1] op_sel_hi:[0,0] neg_lo:[0,1]
	v_pk_fma_f32 v[10:11], v[14:15], v[8:9], v[10:11] op_sel_hi:[1,0,1] neg_lo:[1,0,0] neg_hi:[1,0,0]
	v_pk_add_f32 v[4:5], v[18:19], v[4:5] neg_lo:[0,1] neg_hi:[0,1]
	v_pk_fma_f32 v[8:9], v[16:17], v[8:9], v[12:13] op_sel_hi:[1,0,1]
	v_cmp_gt_u32_e32 vcc, 4, v0
	s_waitcnt lgkmcnt(0)
	; wave barrier
	v_pk_add_f32 v[4:5], v[4:5], v[8:9] neg_lo:[0,1] neg_hi:[0,1]
	ds_write2_b64 v1, v[24:25], v[6:7] offset1:10
	ds_write2_b64 v1, v[10:11], v[4:5] offset0:20 offset1:40
	s_waitcnt lgkmcnt(0)
	; wave barrier
	s_waitcnt lgkmcnt(0)
	s_and_saveexec_b64 s[0:1], vcc
	s_cbranch_execz .LBB44_2
; %bb.1:
	v_add_u32_e32 v0, 0x50, v1
	v_add_u32_e32 v8, 0xa0, v1
	ds_read2_b64 v[4:7], v0 offset1:4
	ds_read_b64 v[12:13], v8
	ds_read_b64 v[14:15], v1 offset:32
	s_waitcnt lgkmcnt(2)
	v_pk_mul_f32 v[8:9], v[4:5], v[6:7] op_sel:[1,1] op_sel_hi:[1,0] neg_lo:[0,1]
	v_pk_fma_f32 v[8:9], v[6:7], v[4:5], v[8:9] op_sel_hi:[1,0,1]
	s_waitcnt lgkmcnt(0)
	v_pk_mul_f32 v[10:11], v[14:15], v[12:13] op_sel:[1,1] op_sel_hi:[1,0] neg_lo:[0,1]
	v_pk_fma_f32 v[10:11], v[12:13], v[14:15], v[10:11] op_sel_hi:[1,0,1]
	v_pk_add_f32 v[16:17], v[8:9], v[10:11] neg_lo:[0,1] neg_hi:[0,1]
	v_mul_f32_e32 v0, v17, v17
	v_fmac_f32_e32 v0, v16, v16
	v_div_scale_f32 v18, s[2:3], v0, v0, 1.0
	v_rcp_f32_e32 v19, v18
	v_or_b32_e32 v8, 0x140, v1
	ds_read2_b64 v[8:11], v8 offset1:4
	v_fma_f32 v20, -v18, v19, 1.0
	v_fmac_f32_e32 v19, v20, v19
	v_div_scale_f32 v20, vcc, 1.0, v0, 1.0
	v_mul_f32_e32 v21, v20, v19
	v_fma_f32 v22, -v18, v21, v20
	v_fmac_f32_e32 v21, v22, v19
	v_fma_f32 v18, -v18, v21, v20
	v_div_fmas_f32 v18, v18, v19, v21
	v_div_fixup_f32 v18, v18, v0, 1.0
	v_fma_f32 v0, 0, v17, v16
	v_fma_f32 v16, v16, 0, -v17
	v_mul_f32_e32 v0, v0, v18
	v_mul_f32_e32 v16, v16, v18
	s_waitcnt lgkmcnt(0)
	v_pk_mul_f32 v[18:19], v[8:9], v[6:7] op_sel:[1,1] op_sel_hi:[1,0] neg_lo:[0,1]
	v_pk_fma_f32 v[6:7], v[6:7], v[8:9], v[18:19] op_sel_hi:[1,0,1]
	v_pk_mul_f32 v[18:19], v[10:11], v[12:13] op_sel:[1,1] op_sel_hi:[1,0] neg_lo:[0,1]
	v_pk_fma_f32 v[12:13], v[12:13], v[10:11], v[18:19] op_sel_hi:[1,0,1]
	v_pk_add_f32 v[6:7], v[6:7], v[12:13] neg_lo:[0,1] neg_hi:[0,1]
	v_pk_mul_f32 v[12:13], v[16:17], v[6:7] op_sel:[0,1] op_sel_hi:[0,0] neg_lo:[0,1]
	v_pk_fma_f32 v[6:7], v[6:7], v[0:1], v[12:13] op_sel_hi:[1,0,1]
	v_pk_mul_f32 v[12:13], v[4:5], v[10:11] op_sel:[1,1] op_sel_hi:[1,0] neg_lo:[0,1]
	v_pk_fma_f32 v[4:5], v[10:11], v[4:5], v[12:13] op_sel_hi:[1,0,1]
	;; [unrolled: 2-line block ×3, first 2 shown]
	v_pk_add_f32 v[4:5], v[4:5], v[8:9] neg_lo:[0,1] neg_hi:[0,1]
	v_pk_mul_f32 v[8:9], v[16:17], v[4:5] op_sel:[0,1] op_sel_hi:[0,0] neg_lo:[0,1]
	v_pk_fma_f32 v[4:5], v[4:5], v[0:1], v[8:9] op_sel_hi:[1,0,1]
	ds_write2_b64 v1, v[6:7], v[4:5] offset0:30 offset1:34
.LBB44_2:
	s_or_b64 exec, exec, s[0:1]
	s_waitcnt lgkmcnt(0)
	; wave barrier
	s_waitcnt lgkmcnt(0)
	ds_read_b64 v[0:1], v1 offset:240
	s_waitcnt lgkmcnt(0)
	global_store_dwordx2 v[2:3], v[0:1], off
	s_endpgm
	.section	.rodata,"a",@progbits
	.p2align	6, 0x0
	.amdhsa_kernel _ZN9rocsparseL49gtsv_nopivot_strided_batch_pcr_pow2_shared_kernelILj8E21rocsparse_complex_numIfEEEviiiPKT0_S5_S5_PS3_
		.amdhsa_group_segment_fixed_size 392
		.amdhsa_private_segment_fixed_size 0
		.amdhsa_kernarg_size 48
		.amdhsa_user_sgpr_count 6
		.amdhsa_user_sgpr_private_segment_buffer 1
		.amdhsa_user_sgpr_dispatch_ptr 0
		.amdhsa_user_sgpr_queue_ptr 0
		.amdhsa_user_sgpr_kernarg_segment_ptr 1
		.amdhsa_user_sgpr_dispatch_id 0
		.amdhsa_user_sgpr_flat_scratch_init 0
		.amdhsa_user_sgpr_kernarg_preload_length 0
		.amdhsa_user_sgpr_kernarg_preload_offset 0
		.amdhsa_user_sgpr_private_segment_size 0
		.amdhsa_uses_dynamic_stack 0
		.amdhsa_system_sgpr_private_segment_wavefront_offset 0
		.amdhsa_system_sgpr_workgroup_id_x 1
		.amdhsa_system_sgpr_workgroup_id_y 0
		.amdhsa_system_sgpr_workgroup_id_z 0
		.amdhsa_system_sgpr_workgroup_info 0
		.amdhsa_system_vgpr_workitem_id 0
		.amdhsa_next_free_vgpr 37
		.amdhsa_next_free_sgpr 16
		.amdhsa_accum_offset 40
		.amdhsa_reserve_vcc 1
		.amdhsa_reserve_flat_scratch 0
		.amdhsa_float_round_mode_32 0
		.amdhsa_float_round_mode_16_64 0
		.amdhsa_float_denorm_mode_32 3
		.amdhsa_float_denorm_mode_16_64 3
		.amdhsa_dx10_clamp 1
		.amdhsa_ieee_mode 1
		.amdhsa_fp16_overflow 0
		.amdhsa_tg_split 0
		.amdhsa_exception_fp_ieee_invalid_op 0
		.amdhsa_exception_fp_denorm_src 0
		.amdhsa_exception_fp_ieee_div_zero 0
		.amdhsa_exception_fp_ieee_overflow 0
		.amdhsa_exception_fp_ieee_underflow 0
		.amdhsa_exception_fp_ieee_inexact 0
		.amdhsa_exception_int_div_zero 0
	.end_amdhsa_kernel
	.section	.text._ZN9rocsparseL49gtsv_nopivot_strided_batch_pcr_pow2_shared_kernelILj8E21rocsparse_complex_numIfEEEviiiPKT0_S5_S5_PS3_,"axG",@progbits,_ZN9rocsparseL49gtsv_nopivot_strided_batch_pcr_pow2_shared_kernelILj8E21rocsparse_complex_numIfEEEviiiPKT0_S5_S5_PS3_,comdat
.Lfunc_end44:
	.size	_ZN9rocsparseL49gtsv_nopivot_strided_batch_pcr_pow2_shared_kernelILj8E21rocsparse_complex_numIfEEEviiiPKT0_S5_S5_PS3_, .Lfunc_end44-_ZN9rocsparseL49gtsv_nopivot_strided_batch_pcr_pow2_shared_kernelILj8E21rocsparse_complex_numIfEEEviiiPKT0_S5_S5_PS3_
                                        ; -- End function
	.section	.AMDGPU.csdata,"",@progbits
; Kernel info:
; codeLenInByte = 1472
; NumSgprs: 20
; NumVgprs: 37
; NumAgprs: 0
; TotalNumVgprs: 37
; ScratchSize: 0
; MemoryBound: 0
; FloatMode: 240
; IeeeMode: 1
; LDSByteSize: 392 bytes/workgroup (compile time only)
; SGPRBlocks: 2
; VGPRBlocks: 4
; NumSGPRsForWavesPerEU: 20
; NumVGPRsForWavesPerEU: 37
; AccumOffset: 40
; Occupancy: 8
; WaveLimiterHint : 0
; COMPUTE_PGM_RSRC2:SCRATCH_EN: 0
; COMPUTE_PGM_RSRC2:USER_SGPR: 6
; COMPUTE_PGM_RSRC2:TRAP_HANDLER: 0
; COMPUTE_PGM_RSRC2:TGID_X_EN: 1
; COMPUTE_PGM_RSRC2:TGID_Y_EN: 0
; COMPUTE_PGM_RSRC2:TGID_Z_EN: 0
; COMPUTE_PGM_RSRC2:TIDIG_COMP_CNT: 0
; COMPUTE_PGM_RSRC3_GFX90A:ACCUM_OFFSET: 9
; COMPUTE_PGM_RSRC3_GFX90A:TG_SPLIT: 0
	.section	.text._ZN9rocsparseL49gtsv_nopivot_strided_batch_pcr_pow2_shared_kernelILj16E21rocsparse_complex_numIfEEEviiiPKT0_S5_S5_PS3_,"axG",@progbits,_ZN9rocsparseL49gtsv_nopivot_strided_batch_pcr_pow2_shared_kernelILj16E21rocsparse_complex_numIfEEEviiiPKT0_S5_S5_PS3_,comdat
	.globl	_ZN9rocsparseL49gtsv_nopivot_strided_batch_pcr_pow2_shared_kernelILj16E21rocsparse_complex_numIfEEEviiiPKT0_S5_S5_PS3_ ; -- Begin function _ZN9rocsparseL49gtsv_nopivot_strided_batch_pcr_pow2_shared_kernelILj16E21rocsparse_complex_numIfEEEviiiPKT0_S5_S5_PS3_
	.p2align	8
	.type	_ZN9rocsparseL49gtsv_nopivot_strided_batch_pcr_pow2_shared_kernelILj16E21rocsparse_complex_numIfEEEviiiPKT0_S5_S5_PS3_,@function
_ZN9rocsparseL49gtsv_nopivot_strided_batch_pcr_pow2_shared_kernelILj16E21rocsparse_complex_numIfEEEviiiPKT0_S5_S5_PS3_: ; @_ZN9rocsparseL49gtsv_nopivot_strided_batch_pcr_pow2_shared_kernelILj16E21rocsparse_complex_numIfEEEviiiPKT0_S5_S5_PS3_
; %bb.0:
	s_load_dword s0, s[4:5], 0x8
	s_load_dwordx8 s[8:15], s[4:5], 0x10
	v_max_u32_e32 v13, 1, v0
	v_min_u32_e32 v12, 14, v0
	v_lshlrev_b32_e32 v24, 3, v13
	s_waitcnt lgkmcnt(0)
	s_mul_i32 s6, s6, s0
	v_add_u32_e32 v2, s6, v0
	v_ashrrev_i32_e32 v3, 31, v2
	v_lshlrev_b64 v[2:3], 3, v[2:3]
	v_mov_b32_e32 v1, s9
	v_add_co_u32_e32 v4, vcc, s8, v2
	v_addc_co_u32_e32 v5, vcc, v1, v3, vcc
	v_mov_b32_e32 v1, s11
	v_add_co_u32_e32 v6, vcc, s10, v2
	v_addc_co_u32_e32 v7, vcc, v1, v3, vcc
	;; [unrolled: 3-line block ×3, first 2 shown]
	v_mov_b32_e32 v1, s15
	v_add_co_u32_e32 v2, vcc, s14, v2
	global_load_dwordx2 v[4:5], v[4:5], off
	v_addc_co_u32_e32 v3, vcc, v1, v3, vcc
	global_load_dwordx2 v[6:7], v[6:7], off
	v_lshlrev_b32_e32 v1, 3, v0
	global_load_dwordx2 v[8:9], v[8:9], off
	v_lshlrev_b32_e32 v20, 3, v12
	global_load_dwordx2 v[10:11], v[2:3], off
	v_add_u32_e32 v26, -8, v24
	v_max_u32_e32 v32, 2, v0
	s_waitcnt vmcnt(2)
	ds_write2_b64 v1, v[4:5], v[6:7] offset1:18
	s_waitcnt vmcnt(0)
	ds_write2_b64 v1, v[8:9], v[10:11] offset0:36 offset1:72
	s_waitcnt lgkmcnt(0)
	; wave barrier
	s_waitcnt lgkmcnt(0)
	ds_read2_b64 v[4:7], v1 offset1:18
	ds_read2_b64 v[8:11], v24 offset0:17 offset1:35
	ds_read2_b64 v[12:15], v1 offset0:36 offset1:72
	;; [unrolled: 1-line block ×4, first 2 shown]
	ds_read_b64 v[24:25], v24 offset:568
	ds_read_b64 v[26:27], v26
	s_waitcnt lgkmcnt(5)
	v_mul_f32_e32 v28, v9, v9
	v_mul_f32_e32 v29, v9, v5
	s_waitcnt lgkmcnt(3)
	v_mul_f32_e32 v30, v19, v19
	v_fmac_f32_e32 v28, v8, v8
	v_mul_f32_e64 v9, v9, -v4
	v_mul_f32_e32 v31, v19, v13
	v_fmac_f32_e32 v29, v4, v8
	v_fmac_f32_e32 v30, v18, v18
	v_div_scale_f32 v4, s[0:1], v28, v28, 1.0
	v_mul_f32_e64 v19, v19, -v12
	v_fmac_f32_e32 v9, v5, v8
	v_fmac_f32_e32 v31, v12, v18
	v_div_scale_f32 v8, s[0:1], v30, v30, 1.0
	v_rcp_f32_e32 v12, v4
	v_fmac_f32_e32 v19, v13, v18
	v_rcp_f32_e32 v13, v8
	v_div_scale_f32 v5, vcc, 1.0, v28, 1.0
	v_fma_f32 v33, -v4, v12, 1.0
	v_fma_f32 v34, -v8, v13, 1.0
	v_fmac_f32_e32 v12, v33, v12
	v_div_scale_f32 v18, s[0:1], 1.0, v30, 1.0
	v_fmac_f32_e32 v13, v34, v13
	v_mul_f32_e32 v33, v5, v12
	v_mul_f32_e32 v34, v18, v13
	v_fma_f32 v35, -v4, v33, v5
	v_fma_f32 v36, -v8, v34, v18
	v_fmac_f32_e32 v33, v35, v12
	v_fmac_f32_e32 v34, v36, v13
	v_fma_f32 v4, -v4, v33, v5
	v_fma_f32 v5, -v8, v34, v18
	v_div_fmas_f32 v4, v4, v12, v33
	s_mov_b64 vcc, s[0:1]
	v_div_fixup_f32 v8, v4, v28, 1.0
	v_div_fmas_f32 v5, v5, v13, v34
	v_mul_f32_e32 v4, v8, v29
	v_mul_f32_e32 v8, v9, v8
	v_div_fixup_f32 v5, v5, v30, 1.0
	v_mul_f32_e32 v12, v5, v31
	v_mul_f32_e32 v18, v19, v5
	s_waitcnt lgkmcnt(0)
	v_pk_mul_f32 v[28:29], v[8:9], v[26:27] op_sel:[0,1] op_sel_hi:[0,0] neg_hi:[0,1]
	v_pk_mul_f32 v[30:31], v[8:9], v[10:11] op_sel:[0,1] op_sel_hi:[0,0] neg_lo:[0,1]
	v_pk_mul_f32 v[8:9], v[8:9], v[24:25] op_sel:[0,1] op_sel_hi:[0,0] neg_lo:[0,1]
	v_pk_fma_f32 v[26:27], v[26:27], v[4:5], v[28:29] op_sel_hi:[1,0,1] neg_lo:[1,0,0] neg_hi:[1,0,0]
	v_pk_fma_f32 v[10:11], v[10:11], v[4:5], v[30:31] op_sel_hi:[1,0,1]
	v_pk_mul_f32 v[28:29], v[18:19], v[16:17] op_sel:[0,1] op_sel_hi:[0,0] neg_lo:[0,1]
	v_pk_fma_f32 v[4:5], v[24:25], v[4:5], v[8:9] op_sel_hi:[1,0,1]
	v_pk_mul_f32 v[8:9], v[18:19], v[22:23] op_sel:[0,1] op_sel_hi:[0,0] neg_lo:[0,1]
	v_pk_mul_f32 v[30:31], v[18:19], v[20:21] op_sel:[0,1] op_sel_hi:[0,0] neg_hi:[0,1]
	v_pk_add_f32 v[6:7], v[6:7], v[10:11] neg_lo:[0,1] neg_hi:[0,1]
	v_pk_fma_f32 v[10:11], v[16:17], v[12:13], v[28:29] op_sel_hi:[1,0,1]
	v_pk_add_f32 v[4:5], v[14:15], v[4:5] neg_lo:[0,1] neg_hi:[0,1]
	v_pk_fma_f32 v[8:9], v[22:23], v[12:13], v[8:9] op_sel_hi:[1,0,1]
	v_pk_fma_f32 v[16:17], v[20:21], v[12:13], v[30:31] op_sel_hi:[1,0,1] neg_lo:[1,0,0] neg_hi:[1,0,0]
	v_pk_add_f32 v[6:7], v[6:7], v[10:11] neg_lo:[0,1] neg_hi:[0,1]
	v_pk_add_f32 v[4:5], v[4:5], v[8:9] neg_lo:[0,1] neg_hi:[0,1]
	v_lshlrev_b32_e32 v21, 3, v32
	s_waitcnt lgkmcnt(0)
	; wave barrier
	ds_write2_b64 v1, v[26:27], v[6:7] offset1:18
	ds_write2_b64 v1, v[16:17], v[4:5] offset0:36 offset1:72
	s_waitcnt lgkmcnt(0)
	; wave barrier
	s_waitcnt lgkmcnt(0)
	ds_read2_b64 v[4:7], v21 offset0:16 offset1:34
	v_min_u32_e32 v15, 13, v0
	ds_read2_b64 v[8:11], v1 offset1:18
	v_lshlrev_b32_e32 v27, 3, v15
	v_add_u32_e32 v24, -16, v21
	s_waitcnt lgkmcnt(1)
	v_mul_f32_e32 v12, v5, v5
	v_fmac_f32_e32 v12, v4, v4
	v_div_scale_f32 v13, s[0:1], v12, v12, 1.0
	v_rcp_f32_e32 v14, v13
	v_fma_f32 v16, -v13, v14, 1.0
	v_fmac_f32_e32 v14, v16, v14
	v_div_scale_f32 v16, vcc, 1.0, v12, 1.0
	v_mul_f32_e32 v17, v16, v14
	v_fma_f32 v18, -v13, v17, v16
	v_fmac_f32_e32 v17, v18, v14
	v_fma_f32 v13, -v13, v17, v16
	v_div_fmas_f32 v13, v13, v14, v17
	v_div_fixup_f32 v16, v13, v12, 1.0
	ds_read2_b64 v[12:15], v27 offset0:2 offset1:20
	s_waitcnt lgkmcnt(1)
	v_mul_f32_e32 v17, v5, v9
	v_fmac_f32_e32 v17, v8, v4
	v_mul_f32_e64 v5, v5, -v8
	v_fmac_f32_e32 v5, v9, v4
	s_waitcnt lgkmcnt(0)
	v_mul_f32_e32 v8, v15, v15
	v_fmac_f32_e32 v8, v14, v14
	v_div_scale_f32 v22, s[0:1], v8, v8, 1.0
	v_rcp_f32_e32 v23, v22
	v_mul_f32_e32 v4, v5, v16
	v_mul_f32_e32 v20, v16, v17
	ds_read2_b64 v[16:19], v1 offset0:36 offset1:72
	v_fma_f32 v5, -v22, v23, 1.0
	v_fmac_f32_e32 v23, v5, v23
	v_div_scale_f32 v5, vcc, 1.0, v8, 1.0
	v_mul_f32_e32 v9, v5, v23
	v_fma_f32 v25, -v22, v9, v5
	v_fmac_f32_e32 v9, v25, v23
	v_fma_f32 v5, -v22, v9, v5
	v_div_fmas_f32 v5, v5, v23, v9
	ds_read_b64 v[22:23], v21 offset:560
	ds_read_b64 v[24:25], v24
	v_div_fixup_f32 v5, v5, v8, 1.0
	s_waitcnt lgkmcnt(2)
	v_mul_f32_e32 v8, v15, v17
	v_mul_f32_e64 v9, v15, -v16
	v_fmac_f32_e32 v8, v16, v14
	v_fmac_f32_e32 v9, v17, v14
	ds_read2_b64 v[14:17], v27 offset0:38 offset1:74
	s_waitcnt lgkmcnt(1)
	v_pk_mul_f32 v[28:29], v[4:5], v[24:25] op_sel:[0,1] op_sel_hi:[0,0] neg_hi:[0,1]
	v_pk_fma_f32 v[24:25], v[24:25], v[20:21], v[28:29] op_sel_hi:[1,0,1] neg_lo:[1,0,0] neg_hi:[1,0,0]
	v_pk_mul_f32 v[28:29], v[4:5], v[6:7] op_sel:[0,1] op_sel_hi:[0,0] neg_lo:[0,1]
	v_mul_f32_e32 v26, v9, v5
	v_pk_fma_f32 v[6:7], v[6:7], v[20:21], v[28:29] op_sel_hi:[1,0,1]
	v_mul_f32_e32 v8, v5, v8
	v_pk_add_f32 v[6:7], v[10:11], v[6:7] neg_lo:[0,1] neg_hi:[0,1]
	v_pk_mul_f32 v[10:11], v[26:27], v[12:13] op_sel:[0,1] op_sel_hi:[0,0] neg_lo:[0,1]
	v_pk_fma_f32 v[10:11], v[12:13], v[8:9], v[10:11] op_sel_hi:[1,0,1]
	v_pk_mul_f32 v[4:5], v[4:5], v[22:23] op_sel:[0,1] op_sel_hi:[0,0] neg_lo:[0,1]
	v_pk_add_f32 v[6:7], v[6:7], v[10:11] neg_lo:[0,1] neg_hi:[0,1]
	s_waitcnt lgkmcnt(0)
	v_pk_mul_f32 v[10:11], v[26:27], v[14:15] op_sel:[0,1] op_sel_hi:[0,0] neg_hi:[0,1]
	v_pk_fma_f32 v[4:5], v[22:23], v[20:21], v[4:5] op_sel_hi:[1,0,1]
	v_pk_mul_f32 v[12:13], v[26:27], v[16:17] op_sel:[0,1] op_sel_hi:[0,0] neg_lo:[0,1]
	v_pk_fma_f32 v[10:11], v[14:15], v[8:9], v[10:11] op_sel_hi:[1,0,1] neg_lo:[1,0,0] neg_hi:[1,0,0]
	v_pk_add_f32 v[4:5], v[18:19], v[4:5] neg_lo:[0,1] neg_hi:[0,1]
	v_pk_fma_f32 v[8:9], v[16:17], v[8:9], v[12:13] op_sel_hi:[1,0,1]
	v_pk_add_f32 v[4:5], v[4:5], v[8:9] neg_lo:[0,1] neg_hi:[0,1]
	s_waitcnt lgkmcnt(0)
	; wave barrier
	ds_write2_b64 v1, v[24:25], v[6:7] offset1:18
	ds_write2_b64 v1, v[10:11], v[4:5] offset0:36 offset1:72
	v_max_u32_e32 v4, 4, v0
	v_lshlrev_b32_e32 v21, 3, v4
	s_waitcnt lgkmcnt(0)
	; wave barrier
	s_waitcnt lgkmcnt(0)
	ds_read2_b64 v[4:7], v21 offset0:14 offset1:32
	v_min_u32_e32 v15, 11, v0
	ds_read2_b64 v[8:11], v1 offset1:18
	v_lshlrev_b32_e32 v27, 3, v15
	v_subrev_u32_e32 v24, 32, v21
	s_waitcnt lgkmcnt(1)
	v_mul_f32_e32 v12, v5, v5
	v_fmac_f32_e32 v12, v4, v4
	v_div_scale_f32 v13, s[0:1], v12, v12, 1.0
	v_rcp_f32_e32 v14, v13
	v_fma_f32 v16, -v13, v14, 1.0
	v_fmac_f32_e32 v14, v16, v14
	v_div_scale_f32 v16, vcc, 1.0, v12, 1.0
	v_mul_f32_e32 v17, v16, v14
	v_fma_f32 v18, -v13, v17, v16
	v_fmac_f32_e32 v17, v18, v14
	v_fma_f32 v13, -v13, v17, v16
	v_div_fmas_f32 v13, v13, v14, v17
	v_div_fixup_f32 v16, v13, v12, 1.0
	ds_read2_b64 v[12:15], v27 offset0:4 offset1:22
	s_waitcnt lgkmcnt(1)
	v_mul_f32_e32 v17, v5, v9
	v_fmac_f32_e32 v17, v8, v4
	v_mul_f32_e64 v5, v5, -v8
	v_fmac_f32_e32 v5, v9, v4
	s_waitcnt lgkmcnt(0)
	v_mul_f32_e32 v8, v15, v15
	v_fmac_f32_e32 v8, v14, v14
	v_div_scale_f32 v22, s[0:1], v8, v8, 1.0
	v_rcp_f32_e32 v23, v22
	v_mul_f32_e32 v4, v5, v16
	v_mul_f32_e32 v20, v16, v17
	ds_read2_b64 v[16:19], v1 offset0:36 offset1:72
	v_fma_f32 v5, -v22, v23, 1.0
	v_fmac_f32_e32 v23, v5, v23
	v_div_scale_f32 v5, vcc, 1.0, v8, 1.0
	v_mul_f32_e32 v9, v5, v23
	v_fma_f32 v25, -v22, v9, v5
	v_fmac_f32_e32 v9, v25, v23
	v_fma_f32 v5, -v22, v9, v5
	v_div_fmas_f32 v5, v5, v23, v9
	ds_read_b64 v[22:23], v21 offset:544
	ds_read_b64 v[24:25], v24
	v_div_fixup_f32 v5, v5, v8, 1.0
	s_waitcnt lgkmcnt(2)
	v_mul_f32_e32 v8, v15, v17
	v_mul_f32_e64 v9, v15, -v16
	v_fmac_f32_e32 v8, v16, v14
	v_fmac_f32_e32 v9, v17, v14
	ds_read2_b64 v[14:17], v27 offset0:40 offset1:76
	s_waitcnt lgkmcnt(1)
	v_pk_mul_f32 v[28:29], v[4:5], v[24:25] op_sel:[0,1] op_sel_hi:[0,0] neg_hi:[0,1]
	v_pk_fma_f32 v[24:25], v[24:25], v[20:21], v[28:29] op_sel_hi:[1,0,1] neg_lo:[1,0,0] neg_hi:[1,0,0]
	v_pk_mul_f32 v[28:29], v[4:5], v[6:7] op_sel:[0,1] op_sel_hi:[0,0] neg_lo:[0,1]
	v_mul_f32_e32 v26, v9, v5
	v_pk_fma_f32 v[6:7], v[6:7], v[20:21], v[28:29] op_sel_hi:[1,0,1]
	v_mul_f32_e32 v8, v5, v8
	v_pk_add_f32 v[6:7], v[10:11], v[6:7] neg_lo:[0,1] neg_hi:[0,1]
	v_pk_mul_f32 v[10:11], v[26:27], v[12:13] op_sel:[0,1] op_sel_hi:[0,0] neg_lo:[0,1]
	v_pk_fma_f32 v[10:11], v[12:13], v[8:9], v[10:11] op_sel_hi:[1,0,1]
	v_pk_mul_f32 v[4:5], v[4:5], v[22:23] op_sel:[0,1] op_sel_hi:[0,0] neg_lo:[0,1]
	v_pk_add_f32 v[6:7], v[6:7], v[10:11] neg_lo:[0,1] neg_hi:[0,1]
	s_waitcnt lgkmcnt(0)
	v_pk_mul_f32 v[10:11], v[26:27], v[14:15] op_sel:[0,1] op_sel_hi:[0,0] neg_hi:[0,1]
	v_pk_fma_f32 v[4:5], v[22:23], v[20:21], v[4:5] op_sel_hi:[1,0,1]
	v_pk_mul_f32 v[12:13], v[26:27], v[16:17] op_sel:[0,1] op_sel_hi:[0,0] neg_lo:[0,1]
	v_pk_fma_f32 v[10:11], v[14:15], v[8:9], v[10:11] op_sel_hi:[1,0,1] neg_lo:[1,0,0] neg_hi:[1,0,0]
	v_pk_add_f32 v[4:5], v[18:19], v[4:5] neg_lo:[0,1] neg_hi:[0,1]
	v_pk_fma_f32 v[8:9], v[16:17], v[8:9], v[12:13] op_sel_hi:[1,0,1]
	v_cmp_gt_u32_e32 vcc, 8, v0
	s_waitcnt lgkmcnt(0)
	; wave barrier
	v_pk_add_f32 v[4:5], v[4:5], v[8:9] neg_lo:[0,1] neg_hi:[0,1]
	ds_write2_b64 v1, v[24:25], v[6:7] offset1:18
	ds_write2_b64 v1, v[10:11], v[4:5] offset0:36 offset1:72
	s_waitcnt lgkmcnt(0)
	; wave barrier
	s_waitcnt lgkmcnt(0)
	s_and_saveexec_b64 s[0:1], vcc
	s_cbranch_execz .LBB45_2
; %bb.1:
	v_add_u32_e32 v0, 0x90, v1
	v_add_u32_e32 v8, 0x120, v1
	ds_read2_b64 v[4:7], v0 offset1:8
	ds_read_b64 v[12:13], v8
	ds_read_b64 v[14:15], v1 offset:64
	s_waitcnt lgkmcnt(2)
	v_pk_mul_f32 v[8:9], v[4:5], v[6:7] op_sel:[1,1] op_sel_hi:[1,0] neg_lo:[0,1]
	v_pk_fma_f32 v[8:9], v[6:7], v[4:5], v[8:9] op_sel_hi:[1,0,1]
	s_waitcnt lgkmcnt(0)
	v_pk_mul_f32 v[10:11], v[14:15], v[12:13] op_sel:[1,1] op_sel_hi:[1,0] neg_lo:[0,1]
	v_pk_fma_f32 v[10:11], v[12:13], v[14:15], v[10:11] op_sel_hi:[1,0,1]
	v_pk_add_f32 v[16:17], v[8:9], v[10:11] neg_lo:[0,1] neg_hi:[0,1]
	v_mul_f32_e32 v0, v17, v17
	v_fmac_f32_e32 v0, v16, v16
	v_div_scale_f32 v18, s[2:3], v0, v0, 1.0
	v_rcp_f32_e32 v19, v18
	v_add_u32_e32 v8, 0x240, v1
	ds_read2_b64 v[8:11], v8 offset1:8
	v_fma_f32 v20, -v18, v19, 1.0
	v_fmac_f32_e32 v19, v20, v19
	v_div_scale_f32 v20, vcc, 1.0, v0, 1.0
	v_mul_f32_e32 v21, v20, v19
	v_fma_f32 v22, -v18, v21, v20
	v_fmac_f32_e32 v21, v22, v19
	v_fma_f32 v18, -v18, v21, v20
	v_div_fmas_f32 v18, v18, v19, v21
	v_div_fixup_f32 v18, v18, v0, 1.0
	v_fma_f32 v0, 0, v17, v16
	v_fma_f32 v16, v16, 0, -v17
	v_mul_f32_e32 v0, v0, v18
	v_mul_f32_e32 v16, v16, v18
	s_waitcnt lgkmcnt(0)
	v_pk_mul_f32 v[18:19], v[8:9], v[6:7] op_sel:[1,1] op_sel_hi:[1,0] neg_lo:[0,1]
	v_pk_fma_f32 v[6:7], v[6:7], v[8:9], v[18:19] op_sel_hi:[1,0,1]
	v_pk_mul_f32 v[18:19], v[10:11], v[12:13] op_sel:[1,1] op_sel_hi:[1,0] neg_lo:[0,1]
	v_pk_fma_f32 v[12:13], v[12:13], v[10:11], v[18:19] op_sel_hi:[1,0,1]
	v_pk_add_f32 v[6:7], v[6:7], v[12:13] neg_lo:[0,1] neg_hi:[0,1]
	v_pk_mul_f32 v[12:13], v[16:17], v[6:7] op_sel:[0,1] op_sel_hi:[0,0] neg_lo:[0,1]
	v_pk_fma_f32 v[6:7], v[6:7], v[0:1], v[12:13] op_sel_hi:[1,0,1]
	v_pk_mul_f32 v[12:13], v[4:5], v[10:11] op_sel:[1,1] op_sel_hi:[1,0] neg_lo:[0,1]
	v_pk_fma_f32 v[4:5], v[10:11], v[4:5], v[12:13] op_sel_hi:[1,0,1]
	;; [unrolled: 2-line block ×3, first 2 shown]
	v_pk_add_f32 v[4:5], v[4:5], v[8:9] neg_lo:[0,1] neg_hi:[0,1]
	v_pk_mul_f32 v[8:9], v[16:17], v[4:5] op_sel:[0,1] op_sel_hi:[0,0] neg_lo:[0,1]
	v_pk_fma_f32 v[4:5], v[4:5], v[0:1], v[8:9] op_sel_hi:[1,0,1]
	ds_write2_b64 v1, v[6:7], v[4:5] offset0:54 offset1:62
.LBB45_2:
	s_or_b64 exec, exec, s[0:1]
	s_waitcnt lgkmcnt(0)
	; wave barrier
	s_waitcnt lgkmcnt(0)
	ds_read_b64 v[0:1], v1 offset:432
	s_waitcnt lgkmcnt(0)
	global_store_dwordx2 v[2:3], v[0:1], off
	s_endpgm
	.section	.rodata,"a",@progbits
	.p2align	6, 0x0
	.amdhsa_kernel _ZN9rocsparseL49gtsv_nopivot_strided_batch_pcr_pow2_shared_kernelILj16E21rocsparse_complex_numIfEEEviiiPKT0_S5_S5_PS3_
		.amdhsa_group_segment_fixed_size 712
		.amdhsa_private_segment_fixed_size 0
		.amdhsa_kernarg_size 48
		.amdhsa_user_sgpr_count 6
		.amdhsa_user_sgpr_private_segment_buffer 1
		.amdhsa_user_sgpr_dispatch_ptr 0
		.amdhsa_user_sgpr_queue_ptr 0
		.amdhsa_user_sgpr_kernarg_segment_ptr 1
		.amdhsa_user_sgpr_dispatch_id 0
		.amdhsa_user_sgpr_flat_scratch_init 0
		.amdhsa_user_sgpr_kernarg_preload_length 0
		.amdhsa_user_sgpr_kernarg_preload_offset 0
		.amdhsa_user_sgpr_private_segment_size 0
		.amdhsa_uses_dynamic_stack 0
		.amdhsa_system_sgpr_private_segment_wavefront_offset 0
		.amdhsa_system_sgpr_workgroup_id_x 1
		.amdhsa_system_sgpr_workgroup_id_y 0
		.amdhsa_system_sgpr_workgroup_id_z 0
		.amdhsa_system_sgpr_workgroup_info 0
		.amdhsa_system_vgpr_workitem_id 0
		.amdhsa_next_free_vgpr 37
		.amdhsa_next_free_sgpr 16
		.amdhsa_accum_offset 40
		.amdhsa_reserve_vcc 1
		.amdhsa_reserve_flat_scratch 0
		.amdhsa_float_round_mode_32 0
		.amdhsa_float_round_mode_16_64 0
		.amdhsa_float_denorm_mode_32 3
		.amdhsa_float_denorm_mode_16_64 3
		.amdhsa_dx10_clamp 1
		.amdhsa_ieee_mode 1
		.amdhsa_fp16_overflow 0
		.amdhsa_tg_split 0
		.amdhsa_exception_fp_ieee_invalid_op 0
		.amdhsa_exception_fp_denorm_src 0
		.amdhsa_exception_fp_ieee_div_zero 0
		.amdhsa_exception_fp_ieee_overflow 0
		.amdhsa_exception_fp_ieee_underflow 0
		.amdhsa_exception_fp_ieee_inexact 0
		.amdhsa_exception_int_div_zero 0
	.end_amdhsa_kernel
	.section	.text._ZN9rocsparseL49gtsv_nopivot_strided_batch_pcr_pow2_shared_kernelILj16E21rocsparse_complex_numIfEEEviiiPKT0_S5_S5_PS3_,"axG",@progbits,_ZN9rocsparseL49gtsv_nopivot_strided_batch_pcr_pow2_shared_kernelILj16E21rocsparse_complex_numIfEEEviiiPKT0_S5_S5_PS3_,comdat
.Lfunc_end45:
	.size	_ZN9rocsparseL49gtsv_nopivot_strided_batch_pcr_pow2_shared_kernelILj16E21rocsparse_complex_numIfEEEviiiPKT0_S5_S5_PS3_, .Lfunc_end45-_ZN9rocsparseL49gtsv_nopivot_strided_batch_pcr_pow2_shared_kernelILj16E21rocsparse_complex_numIfEEEviiiPKT0_S5_S5_PS3_
                                        ; -- End function
	.section	.AMDGPU.csdata,"",@progbits
; Kernel info:
; codeLenInByte = 1944
; NumSgprs: 20
; NumVgprs: 37
; NumAgprs: 0
; TotalNumVgprs: 37
; ScratchSize: 0
; MemoryBound: 0
; FloatMode: 240
; IeeeMode: 1
; LDSByteSize: 712 bytes/workgroup (compile time only)
; SGPRBlocks: 2
; VGPRBlocks: 4
; NumSGPRsForWavesPerEU: 20
; NumVGPRsForWavesPerEU: 37
; AccumOffset: 40
; Occupancy: 8
; WaveLimiterHint : 0
; COMPUTE_PGM_RSRC2:SCRATCH_EN: 0
; COMPUTE_PGM_RSRC2:USER_SGPR: 6
; COMPUTE_PGM_RSRC2:TRAP_HANDLER: 0
; COMPUTE_PGM_RSRC2:TGID_X_EN: 1
; COMPUTE_PGM_RSRC2:TGID_Y_EN: 0
; COMPUTE_PGM_RSRC2:TGID_Z_EN: 0
; COMPUTE_PGM_RSRC2:TIDIG_COMP_CNT: 0
; COMPUTE_PGM_RSRC3_GFX90A:ACCUM_OFFSET: 9
; COMPUTE_PGM_RSRC3_GFX90A:TG_SPLIT: 0
	.section	.text._ZN9rocsparseL49gtsv_nopivot_strided_batch_pcr_pow2_shared_kernelILj32E21rocsparse_complex_numIfEEEviiiPKT0_S5_S5_PS3_,"axG",@progbits,_ZN9rocsparseL49gtsv_nopivot_strided_batch_pcr_pow2_shared_kernelILj32E21rocsparse_complex_numIfEEEviiiPKT0_S5_S5_PS3_,comdat
	.globl	_ZN9rocsparseL49gtsv_nopivot_strided_batch_pcr_pow2_shared_kernelILj32E21rocsparse_complex_numIfEEEviiiPKT0_S5_S5_PS3_ ; -- Begin function _ZN9rocsparseL49gtsv_nopivot_strided_batch_pcr_pow2_shared_kernelILj32E21rocsparse_complex_numIfEEEviiiPKT0_S5_S5_PS3_
	.p2align	8
	.type	_ZN9rocsparseL49gtsv_nopivot_strided_batch_pcr_pow2_shared_kernelILj32E21rocsparse_complex_numIfEEEviiiPKT0_S5_S5_PS3_,@function
_ZN9rocsparseL49gtsv_nopivot_strided_batch_pcr_pow2_shared_kernelILj32E21rocsparse_complex_numIfEEEviiiPKT0_S5_S5_PS3_: ; @_ZN9rocsparseL49gtsv_nopivot_strided_batch_pcr_pow2_shared_kernelILj32E21rocsparse_complex_numIfEEEviiiPKT0_S5_S5_PS3_
; %bb.0:
	s_load_dword s0, s[4:5], 0x8
	s_load_dwordx8 s[8:15], s[4:5], 0x10
	v_max_u32_e32 v13, 1, v0
	v_min_u32_e32 v12, 30, v0
	v_lshlrev_b32_e32 v24, 3, v13
	s_waitcnt lgkmcnt(0)
	s_mul_i32 s6, s6, s0
	v_add_u32_e32 v2, s6, v0
	v_ashrrev_i32_e32 v3, 31, v2
	v_lshlrev_b64 v[2:3], 3, v[2:3]
	v_mov_b32_e32 v1, s9
	v_add_co_u32_e32 v4, vcc, s8, v2
	v_addc_co_u32_e32 v5, vcc, v1, v3, vcc
	v_mov_b32_e32 v1, s11
	v_add_co_u32_e32 v6, vcc, s10, v2
	v_addc_co_u32_e32 v7, vcc, v1, v3, vcc
	;; [unrolled: 3-line block ×3, first 2 shown]
	v_mov_b32_e32 v1, s15
	v_add_co_u32_e32 v2, vcc, s14, v2
	global_load_dwordx2 v[4:5], v[4:5], off
	v_addc_co_u32_e32 v3, vcc, v1, v3, vcc
	global_load_dwordx2 v[6:7], v[6:7], off
	v_lshlrev_b32_e32 v1, 3, v0
	global_load_dwordx2 v[8:9], v[8:9], off
	v_lshlrev_b32_e32 v20, 3, v12
	global_load_dwordx2 v[10:11], v[2:3], off
	v_add_u32_e32 v26, -8, v24
	v_max_u32_e32 v32, 2, v0
	s_waitcnt vmcnt(2)
	ds_write2_b64 v1, v[4:5], v[6:7] offset1:34
	s_waitcnt vmcnt(0)
	ds_write2_b64 v1, v[8:9], v[10:11] offset0:68 offset1:136
	s_waitcnt lgkmcnt(0)
	; wave barrier
	s_waitcnt lgkmcnt(0)
	ds_read2_b64 v[4:7], v1 offset1:34
	ds_read2_b64 v[8:11], v24 offset0:33 offset1:67
	ds_read2_b64 v[12:15], v1 offset0:68 offset1:136
	;; [unrolled: 1-line block ×4, first 2 shown]
	ds_read_b64 v[24:25], v24 offset:1080
	ds_read_b64 v[26:27], v26
	s_waitcnt lgkmcnt(5)
	v_mul_f32_e32 v28, v9, v9
	v_mul_f32_e32 v29, v9, v5
	s_waitcnt lgkmcnt(3)
	v_mul_f32_e32 v30, v19, v19
	v_fmac_f32_e32 v28, v8, v8
	v_mul_f32_e64 v9, v9, -v4
	v_mul_f32_e32 v31, v19, v13
	v_fmac_f32_e32 v29, v4, v8
	v_fmac_f32_e32 v30, v18, v18
	v_div_scale_f32 v4, s[0:1], v28, v28, 1.0
	v_mul_f32_e64 v19, v19, -v12
	v_fmac_f32_e32 v9, v5, v8
	v_fmac_f32_e32 v31, v12, v18
	v_div_scale_f32 v8, s[0:1], v30, v30, 1.0
	v_rcp_f32_e32 v12, v4
	v_fmac_f32_e32 v19, v13, v18
	v_rcp_f32_e32 v13, v8
	v_div_scale_f32 v5, vcc, 1.0, v28, 1.0
	v_fma_f32 v33, -v4, v12, 1.0
	v_fma_f32 v34, -v8, v13, 1.0
	v_fmac_f32_e32 v12, v33, v12
	v_div_scale_f32 v18, s[0:1], 1.0, v30, 1.0
	v_fmac_f32_e32 v13, v34, v13
	v_mul_f32_e32 v33, v5, v12
	v_mul_f32_e32 v34, v18, v13
	v_fma_f32 v35, -v4, v33, v5
	v_fma_f32 v36, -v8, v34, v18
	v_fmac_f32_e32 v33, v35, v12
	v_fmac_f32_e32 v34, v36, v13
	v_fma_f32 v4, -v4, v33, v5
	v_fma_f32 v5, -v8, v34, v18
	v_div_fmas_f32 v4, v4, v12, v33
	s_mov_b64 vcc, s[0:1]
	v_div_fixup_f32 v8, v4, v28, 1.0
	v_div_fmas_f32 v5, v5, v13, v34
	v_mul_f32_e32 v4, v8, v29
	v_mul_f32_e32 v8, v9, v8
	v_div_fixup_f32 v5, v5, v30, 1.0
	v_mul_f32_e32 v12, v5, v31
	v_mul_f32_e32 v18, v19, v5
	s_waitcnt lgkmcnt(0)
	v_pk_mul_f32 v[28:29], v[8:9], v[26:27] op_sel:[0,1] op_sel_hi:[0,0] neg_hi:[0,1]
	v_pk_mul_f32 v[30:31], v[8:9], v[10:11] op_sel:[0,1] op_sel_hi:[0,0] neg_lo:[0,1]
	v_pk_mul_f32 v[8:9], v[8:9], v[24:25] op_sel:[0,1] op_sel_hi:[0,0] neg_lo:[0,1]
	v_pk_fma_f32 v[26:27], v[26:27], v[4:5], v[28:29] op_sel_hi:[1,0,1] neg_lo:[1,0,0] neg_hi:[1,0,0]
	v_pk_fma_f32 v[10:11], v[10:11], v[4:5], v[30:31] op_sel_hi:[1,0,1]
	v_pk_mul_f32 v[28:29], v[18:19], v[16:17] op_sel:[0,1] op_sel_hi:[0,0] neg_lo:[0,1]
	v_pk_fma_f32 v[4:5], v[24:25], v[4:5], v[8:9] op_sel_hi:[1,0,1]
	v_pk_mul_f32 v[8:9], v[18:19], v[22:23] op_sel:[0,1] op_sel_hi:[0,0] neg_lo:[0,1]
	v_pk_mul_f32 v[30:31], v[18:19], v[20:21] op_sel:[0,1] op_sel_hi:[0,0] neg_hi:[0,1]
	v_pk_add_f32 v[6:7], v[6:7], v[10:11] neg_lo:[0,1] neg_hi:[0,1]
	v_pk_fma_f32 v[10:11], v[16:17], v[12:13], v[28:29] op_sel_hi:[1,0,1]
	v_pk_add_f32 v[4:5], v[14:15], v[4:5] neg_lo:[0,1] neg_hi:[0,1]
	v_pk_fma_f32 v[8:9], v[22:23], v[12:13], v[8:9] op_sel_hi:[1,0,1]
	v_pk_fma_f32 v[16:17], v[20:21], v[12:13], v[30:31] op_sel_hi:[1,0,1] neg_lo:[1,0,0] neg_hi:[1,0,0]
	v_pk_add_f32 v[6:7], v[6:7], v[10:11] neg_lo:[0,1] neg_hi:[0,1]
	v_pk_add_f32 v[4:5], v[4:5], v[8:9] neg_lo:[0,1] neg_hi:[0,1]
	v_lshlrev_b32_e32 v21, 3, v32
	s_waitcnt lgkmcnt(0)
	; wave barrier
	ds_write2_b64 v1, v[26:27], v[6:7] offset1:34
	ds_write2_b64 v1, v[16:17], v[4:5] offset0:68 offset1:136
	s_waitcnt lgkmcnt(0)
	; wave barrier
	s_waitcnt lgkmcnt(0)
	ds_read2_b64 v[4:7], v21 offset0:32 offset1:66
	v_min_u32_e32 v15, 29, v0
	ds_read2_b64 v[8:11], v1 offset1:34
	v_lshlrev_b32_e32 v27, 3, v15
	v_add_u32_e32 v24, -16, v21
	s_waitcnt lgkmcnt(1)
	v_mul_f32_e32 v12, v5, v5
	v_fmac_f32_e32 v12, v4, v4
	v_div_scale_f32 v13, s[0:1], v12, v12, 1.0
	v_rcp_f32_e32 v14, v13
	v_fma_f32 v16, -v13, v14, 1.0
	v_fmac_f32_e32 v14, v16, v14
	v_div_scale_f32 v16, vcc, 1.0, v12, 1.0
	v_mul_f32_e32 v17, v16, v14
	v_fma_f32 v18, -v13, v17, v16
	v_fmac_f32_e32 v17, v18, v14
	v_fma_f32 v13, -v13, v17, v16
	v_div_fmas_f32 v13, v13, v14, v17
	v_div_fixup_f32 v16, v13, v12, 1.0
	ds_read2_b64 v[12:15], v27 offset0:2 offset1:36
	s_waitcnt lgkmcnt(1)
	v_mul_f32_e32 v17, v5, v9
	v_fmac_f32_e32 v17, v8, v4
	v_mul_f32_e64 v5, v5, -v8
	v_fmac_f32_e32 v5, v9, v4
	s_waitcnt lgkmcnt(0)
	v_mul_f32_e32 v8, v15, v15
	v_fmac_f32_e32 v8, v14, v14
	v_div_scale_f32 v22, s[0:1], v8, v8, 1.0
	v_rcp_f32_e32 v23, v22
	v_mul_f32_e32 v4, v5, v16
	v_mul_f32_e32 v20, v16, v17
	ds_read2_b64 v[16:19], v1 offset0:68 offset1:136
	v_fma_f32 v5, -v22, v23, 1.0
	v_fmac_f32_e32 v23, v5, v23
	v_div_scale_f32 v5, vcc, 1.0, v8, 1.0
	v_mul_f32_e32 v9, v5, v23
	v_fma_f32 v25, -v22, v9, v5
	v_fmac_f32_e32 v9, v25, v23
	v_fma_f32 v5, -v22, v9, v5
	v_div_fmas_f32 v5, v5, v23, v9
	ds_read_b64 v[22:23], v21 offset:1072
	ds_read_b64 v[24:25], v24
	v_div_fixup_f32 v5, v5, v8, 1.0
	s_waitcnt lgkmcnt(2)
	v_mul_f32_e32 v8, v15, v17
	v_mul_f32_e64 v9, v15, -v16
	v_fmac_f32_e32 v8, v16, v14
	v_fmac_f32_e32 v9, v17, v14
	ds_read2_b64 v[14:17], v27 offset0:70 offset1:138
	s_waitcnt lgkmcnt(1)
	v_pk_mul_f32 v[28:29], v[4:5], v[24:25] op_sel:[0,1] op_sel_hi:[0,0] neg_hi:[0,1]
	v_pk_fma_f32 v[24:25], v[24:25], v[20:21], v[28:29] op_sel_hi:[1,0,1] neg_lo:[1,0,0] neg_hi:[1,0,0]
	v_pk_mul_f32 v[28:29], v[4:5], v[6:7] op_sel:[0,1] op_sel_hi:[0,0] neg_lo:[0,1]
	v_mul_f32_e32 v26, v9, v5
	v_pk_fma_f32 v[6:7], v[6:7], v[20:21], v[28:29] op_sel_hi:[1,0,1]
	v_mul_f32_e32 v8, v5, v8
	v_pk_add_f32 v[6:7], v[10:11], v[6:7] neg_lo:[0,1] neg_hi:[0,1]
	v_pk_mul_f32 v[10:11], v[26:27], v[12:13] op_sel:[0,1] op_sel_hi:[0,0] neg_lo:[0,1]
	v_pk_fma_f32 v[10:11], v[12:13], v[8:9], v[10:11] op_sel_hi:[1,0,1]
	v_pk_mul_f32 v[4:5], v[4:5], v[22:23] op_sel:[0,1] op_sel_hi:[0,0] neg_lo:[0,1]
	v_pk_add_f32 v[6:7], v[6:7], v[10:11] neg_lo:[0,1] neg_hi:[0,1]
	s_waitcnt lgkmcnt(0)
	v_pk_mul_f32 v[10:11], v[26:27], v[14:15] op_sel:[0,1] op_sel_hi:[0,0] neg_hi:[0,1]
	v_pk_fma_f32 v[4:5], v[22:23], v[20:21], v[4:5] op_sel_hi:[1,0,1]
	v_pk_mul_f32 v[12:13], v[26:27], v[16:17] op_sel:[0,1] op_sel_hi:[0,0] neg_lo:[0,1]
	v_pk_fma_f32 v[10:11], v[14:15], v[8:9], v[10:11] op_sel_hi:[1,0,1] neg_lo:[1,0,0] neg_hi:[1,0,0]
	v_pk_add_f32 v[4:5], v[18:19], v[4:5] neg_lo:[0,1] neg_hi:[0,1]
	v_pk_fma_f32 v[8:9], v[16:17], v[8:9], v[12:13] op_sel_hi:[1,0,1]
	v_pk_add_f32 v[4:5], v[4:5], v[8:9] neg_lo:[0,1] neg_hi:[0,1]
	s_waitcnt lgkmcnt(0)
	; wave barrier
	ds_write2_b64 v1, v[24:25], v[6:7] offset1:34
	ds_write2_b64 v1, v[10:11], v[4:5] offset0:68 offset1:136
	v_max_u32_e32 v4, 4, v0
	v_lshlrev_b32_e32 v21, 3, v4
	s_waitcnt lgkmcnt(0)
	; wave barrier
	s_waitcnt lgkmcnt(0)
	ds_read2_b64 v[4:7], v21 offset0:30 offset1:64
	v_min_u32_e32 v15, 27, v0
	ds_read2_b64 v[8:11], v1 offset1:34
	v_lshlrev_b32_e32 v27, 3, v15
	v_subrev_u32_e32 v24, 32, v21
	s_waitcnt lgkmcnt(1)
	v_mul_f32_e32 v12, v5, v5
	v_fmac_f32_e32 v12, v4, v4
	v_div_scale_f32 v13, s[0:1], v12, v12, 1.0
	v_rcp_f32_e32 v14, v13
	v_fma_f32 v16, -v13, v14, 1.0
	v_fmac_f32_e32 v14, v16, v14
	v_div_scale_f32 v16, vcc, 1.0, v12, 1.0
	v_mul_f32_e32 v17, v16, v14
	v_fma_f32 v18, -v13, v17, v16
	v_fmac_f32_e32 v17, v18, v14
	v_fma_f32 v13, -v13, v17, v16
	v_div_fmas_f32 v13, v13, v14, v17
	v_div_fixup_f32 v16, v13, v12, 1.0
	ds_read2_b64 v[12:15], v27 offset0:4 offset1:38
	s_waitcnt lgkmcnt(1)
	v_mul_f32_e32 v17, v5, v9
	v_fmac_f32_e32 v17, v8, v4
	v_mul_f32_e64 v5, v5, -v8
	v_fmac_f32_e32 v5, v9, v4
	s_waitcnt lgkmcnt(0)
	v_mul_f32_e32 v8, v15, v15
	v_fmac_f32_e32 v8, v14, v14
	v_div_scale_f32 v22, s[0:1], v8, v8, 1.0
	v_rcp_f32_e32 v23, v22
	v_mul_f32_e32 v4, v5, v16
	v_mul_f32_e32 v20, v16, v17
	ds_read2_b64 v[16:19], v1 offset0:68 offset1:136
	v_fma_f32 v5, -v22, v23, 1.0
	v_fmac_f32_e32 v23, v5, v23
	v_div_scale_f32 v5, vcc, 1.0, v8, 1.0
	v_mul_f32_e32 v9, v5, v23
	v_fma_f32 v25, -v22, v9, v5
	v_fmac_f32_e32 v9, v25, v23
	v_fma_f32 v5, -v22, v9, v5
	v_div_fmas_f32 v5, v5, v23, v9
	ds_read_b64 v[22:23], v21 offset:1056
	ds_read_b64 v[24:25], v24
	v_div_fixup_f32 v5, v5, v8, 1.0
	s_waitcnt lgkmcnt(2)
	v_mul_f32_e32 v8, v15, v17
	v_mul_f32_e64 v9, v15, -v16
	v_fmac_f32_e32 v8, v16, v14
	v_fmac_f32_e32 v9, v17, v14
	ds_read2_b64 v[14:17], v27 offset0:72 offset1:140
	s_waitcnt lgkmcnt(1)
	v_pk_mul_f32 v[28:29], v[4:5], v[24:25] op_sel:[0,1] op_sel_hi:[0,0] neg_hi:[0,1]
	v_pk_fma_f32 v[24:25], v[24:25], v[20:21], v[28:29] op_sel_hi:[1,0,1] neg_lo:[1,0,0] neg_hi:[1,0,0]
	v_pk_mul_f32 v[28:29], v[4:5], v[6:7] op_sel:[0,1] op_sel_hi:[0,0] neg_lo:[0,1]
	v_mul_f32_e32 v26, v9, v5
	v_pk_fma_f32 v[6:7], v[6:7], v[20:21], v[28:29] op_sel_hi:[1,0,1]
	v_mul_f32_e32 v8, v5, v8
	v_pk_add_f32 v[6:7], v[10:11], v[6:7] neg_lo:[0,1] neg_hi:[0,1]
	v_pk_mul_f32 v[10:11], v[26:27], v[12:13] op_sel:[0,1] op_sel_hi:[0,0] neg_lo:[0,1]
	v_pk_fma_f32 v[10:11], v[12:13], v[8:9], v[10:11] op_sel_hi:[1,0,1]
	v_pk_mul_f32 v[4:5], v[4:5], v[22:23] op_sel:[0,1] op_sel_hi:[0,0] neg_lo:[0,1]
	v_pk_add_f32 v[6:7], v[6:7], v[10:11] neg_lo:[0,1] neg_hi:[0,1]
	s_waitcnt lgkmcnt(0)
	v_pk_mul_f32 v[10:11], v[26:27], v[14:15] op_sel:[0,1] op_sel_hi:[0,0] neg_hi:[0,1]
	v_pk_fma_f32 v[4:5], v[22:23], v[20:21], v[4:5] op_sel_hi:[1,0,1]
	v_pk_mul_f32 v[12:13], v[26:27], v[16:17] op_sel:[0,1] op_sel_hi:[0,0] neg_lo:[0,1]
	v_pk_fma_f32 v[10:11], v[14:15], v[8:9], v[10:11] op_sel_hi:[1,0,1] neg_lo:[1,0,0] neg_hi:[1,0,0]
	v_pk_add_f32 v[4:5], v[18:19], v[4:5] neg_lo:[0,1] neg_hi:[0,1]
	v_pk_fma_f32 v[8:9], v[16:17], v[8:9], v[12:13] op_sel_hi:[1,0,1]
	v_pk_add_f32 v[4:5], v[4:5], v[8:9] neg_lo:[0,1] neg_hi:[0,1]
	s_waitcnt lgkmcnt(0)
	; wave barrier
	ds_write2_b64 v1, v[24:25], v[6:7] offset1:34
	ds_write2_b64 v1, v[10:11], v[4:5] offset0:68 offset1:136
	v_max_u32_e32 v4, 8, v0
	v_lshlrev_b32_e32 v21, 3, v4
	s_waitcnt lgkmcnt(0)
	; wave barrier
	s_waitcnt lgkmcnt(0)
	ds_read2_b64 v[4:7], v21 offset0:26 offset1:60
	v_min_u32_e32 v15, 23, v0
	ds_read2_b64 v[8:11], v1 offset1:34
	v_lshlrev_b32_e32 v27, 3, v15
	v_subrev_u32_e32 v24, 64, v21
	s_waitcnt lgkmcnt(1)
	v_mul_f32_e32 v12, v5, v5
	v_fmac_f32_e32 v12, v4, v4
	v_div_scale_f32 v13, s[0:1], v12, v12, 1.0
	v_rcp_f32_e32 v14, v13
	v_fma_f32 v16, -v13, v14, 1.0
	v_fmac_f32_e32 v14, v16, v14
	v_div_scale_f32 v16, vcc, 1.0, v12, 1.0
	v_mul_f32_e32 v17, v16, v14
	v_fma_f32 v18, -v13, v17, v16
	v_fmac_f32_e32 v17, v18, v14
	v_fma_f32 v13, -v13, v17, v16
	v_div_fmas_f32 v13, v13, v14, v17
	v_div_fixup_f32 v16, v13, v12, 1.0
	ds_read2_b64 v[12:15], v27 offset0:8 offset1:42
	s_waitcnt lgkmcnt(1)
	v_mul_f32_e32 v17, v5, v9
	v_fmac_f32_e32 v17, v8, v4
	v_mul_f32_e64 v5, v5, -v8
	v_fmac_f32_e32 v5, v9, v4
	s_waitcnt lgkmcnt(0)
	v_mul_f32_e32 v8, v15, v15
	v_fmac_f32_e32 v8, v14, v14
	v_div_scale_f32 v22, s[0:1], v8, v8, 1.0
	v_rcp_f32_e32 v23, v22
	v_mul_f32_e32 v4, v5, v16
	v_mul_f32_e32 v20, v16, v17
	ds_read2_b64 v[16:19], v1 offset0:68 offset1:136
	v_fma_f32 v5, -v22, v23, 1.0
	v_fmac_f32_e32 v23, v5, v23
	v_div_scale_f32 v5, vcc, 1.0, v8, 1.0
	v_mul_f32_e32 v9, v5, v23
	v_fma_f32 v25, -v22, v9, v5
	v_fmac_f32_e32 v9, v25, v23
	v_fma_f32 v5, -v22, v9, v5
	v_div_fmas_f32 v5, v5, v23, v9
	ds_read_b64 v[22:23], v21 offset:1024
	ds_read_b64 v[24:25], v24
	v_div_fixup_f32 v5, v5, v8, 1.0
	s_waitcnt lgkmcnt(2)
	v_mul_f32_e32 v8, v15, v17
	v_mul_f32_e64 v9, v15, -v16
	v_fmac_f32_e32 v8, v16, v14
	v_fmac_f32_e32 v9, v17, v14
	ds_read2_b64 v[14:17], v27 offset0:76 offset1:144
	s_waitcnt lgkmcnt(1)
	v_pk_mul_f32 v[28:29], v[4:5], v[24:25] op_sel:[0,1] op_sel_hi:[0,0] neg_hi:[0,1]
	v_pk_fma_f32 v[24:25], v[24:25], v[20:21], v[28:29] op_sel_hi:[1,0,1] neg_lo:[1,0,0] neg_hi:[1,0,0]
	v_pk_mul_f32 v[28:29], v[4:5], v[6:7] op_sel:[0,1] op_sel_hi:[0,0] neg_lo:[0,1]
	v_mul_f32_e32 v26, v9, v5
	v_pk_fma_f32 v[6:7], v[6:7], v[20:21], v[28:29] op_sel_hi:[1,0,1]
	v_mul_f32_e32 v8, v5, v8
	v_pk_add_f32 v[6:7], v[10:11], v[6:7] neg_lo:[0,1] neg_hi:[0,1]
	v_pk_mul_f32 v[10:11], v[26:27], v[12:13] op_sel:[0,1] op_sel_hi:[0,0] neg_lo:[0,1]
	v_pk_fma_f32 v[10:11], v[12:13], v[8:9], v[10:11] op_sel_hi:[1,0,1]
	v_pk_mul_f32 v[4:5], v[4:5], v[22:23] op_sel:[0,1] op_sel_hi:[0,0] neg_lo:[0,1]
	v_pk_add_f32 v[6:7], v[6:7], v[10:11] neg_lo:[0,1] neg_hi:[0,1]
	s_waitcnt lgkmcnt(0)
	v_pk_mul_f32 v[10:11], v[26:27], v[14:15] op_sel:[0,1] op_sel_hi:[0,0] neg_hi:[0,1]
	v_pk_fma_f32 v[4:5], v[22:23], v[20:21], v[4:5] op_sel_hi:[1,0,1]
	v_pk_mul_f32 v[12:13], v[26:27], v[16:17] op_sel:[0,1] op_sel_hi:[0,0] neg_lo:[0,1]
	v_pk_fma_f32 v[10:11], v[14:15], v[8:9], v[10:11] op_sel_hi:[1,0,1] neg_lo:[1,0,0] neg_hi:[1,0,0]
	v_pk_add_f32 v[4:5], v[18:19], v[4:5] neg_lo:[0,1] neg_hi:[0,1]
	v_pk_fma_f32 v[8:9], v[16:17], v[8:9], v[12:13] op_sel_hi:[1,0,1]
	v_cmp_gt_u32_e32 vcc, 16, v0
	s_waitcnt lgkmcnt(0)
	; wave barrier
	v_pk_add_f32 v[4:5], v[4:5], v[8:9] neg_lo:[0,1] neg_hi:[0,1]
	ds_write2_b64 v1, v[24:25], v[6:7] offset1:34
	ds_write2_b64 v1, v[10:11], v[4:5] offset0:68 offset1:136
	s_waitcnt lgkmcnt(0)
	; wave barrier
	s_waitcnt lgkmcnt(0)
	s_and_saveexec_b64 s[0:1], vcc
	s_cbranch_execz .LBB46_2
; %bb.1:
	v_add_u32_e32 v0, 0x110, v1
	v_add_u32_e32 v8, 0x220, v1
	ds_read2_b64 v[4:7], v0 offset1:16
	ds_read_b64 v[12:13], v8
	ds_read_b64 v[14:15], v1 offset:128
	s_waitcnt lgkmcnt(2)
	v_pk_mul_f32 v[8:9], v[4:5], v[6:7] op_sel:[1,1] op_sel_hi:[1,0] neg_lo:[0,1]
	v_pk_fma_f32 v[8:9], v[6:7], v[4:5], v[8:9] op_sel_hi:[1,0,1]
	s_waitcnt lgkmcnt(0)
	v_pk_mul_f32 v[10:11], v[14:15], v[12:13] op_sel:[1,1] op_sel_hi:[1,0] neg_lo:[0,1]
	v_pk_fma_f32 v[10:11], v[12:13], v[14:15], v[10:11] op_sel_hi:[1,0,1]
	v_pk_add_f32 v[16:17], v[8:9], v[10:11] neg_lo:[0,1] neg_hi:[0,1]
	v_mul_f32_e32 v0, v17, v17
	v_fmac_f32_e32 v0, v16, v16
	v_div_scale_f32 v18, s[2:3], v0, v0, 1.0
	v_rcp_f32_e32 v19, v18
	v_add_u32_e32 v8, 0x440, v1
	ds_read2_b64 v[8:11], v8 offset1:16
	v_fma_f32 v20, -v18, v19, 1.0
	v_fmac_f32_e32 v19, v20, v19
	v_div_scale_f32 v20, vcc, 1.0, v0, 1.0
	v_mul_f32_e32 v21, v20, v19
	v_fma_f32 v22, -v18, v21, v20
	v_fmac_f32_e32 v21, v22, v19
	v_fma_f32 v18, -v18, v21, v20
	v_div_fmas_f32 v18, v18, v19, v21
	v_div_fixup_f32 v18, v18, v0, 1.0
	v_fma_f32 v0, 0, v17, v16
	v_fma_f32 v16, v16, 0, -v17
	v_mul_f32_e32 v0, v0, v18
	v_mul_f32_e32 v16, v16, v18
	s_waitcnt lgkmcnt(0)
	v_pk_mul_f32 v[18:19], v[8:9], v[6:7] op_sel:[1,1] op_sel_hi:[1,0] neg_lo:[0,1]
	v_pk_fma_f32 v[6:7], v[6:7], v[8:9], v[18:19] op_sel_hi:[1,0,1]
	v_pk_mul_f32 v[18:19], v[10:11], v[12:13] op_sel:[1,1] op_sel_hi:[1,0] neg_lo:[0,1]
	v_pk_fma_f32 v[12:13], v[12:13], v[10:11], v[18:19] op_sel_hi:[1,0,1]
	v_pk_add_f32 v[6:7], v[6:7], v[12:13] neg_lo:[0,1] neg_hi:[0,1]
	v_pk_mul_f32 v[12:13], v[16:17], v[6:7] op_sel:[0,1] op_sel_hi:[0,0] neg_lo:[0,1]
	v_pk_fma_f32 v[6:7], v[6:7], v[0:1], v[12:13] op_sel_hi:[1,0,1]
	v_pk_mul_f32 v[12:13], v[4:5], v[10:11] op_sel:[1,1] op_sel_hi:[1,0] neg_lo:[0,1]
	v_pk_fma_f32 v[4:5], v[10:11], v[4:5], v[12:13] op_sel_hi:[1,0,1]
	;; [unrolled: 2-line block ×3, first 2 shown]
	v_pk_add_f32 v[4:5], v[4:5], v[8:9] neg_lo:[0,1] neg_hi:[0,1]
	v_pk_mul_f32 v[8:9], v[16:17], v[4:5] op_sel:[0,1] op_sel_hi:[0,0] neg_lo:[0,1]
	v_pk_fma_f32 v[4:5], v[4:5], v[0:1], v[8:9] op_sel_hi:[1,0,1]
	ds_write2_b64 v1, v[6:7], v[4:5] offset0:102 offset1:118
.LBB46_2:
	s_or_b64 exec, exec, s[0:1]
	s_waitcnt lgkmcnt(0)
	; wave barrier
	s_waitcnt lgkmcnt(0)
	ds_read_b64 v[0:1], v1 offset:816
	s_waitcnt lgkmcnt(0)
	global_store_dwordx2 v[2:3], v[0:1], off
	s_endpgm
	.section	.rodata,"a",@progbits
	.p2align	6, 0x0
	.amdhsa_kernel _ZN9rocsparseL49gtsv_nopivot_strided_batch_pcr_pow2_shared_kernelILj32E21rocsparse_complex_numIfEEEviiiPKT0_S5_S5_PS3_
		.amdhsa_group_segment_fixed_size 1352
		.amdhsa_private_segment_fixed_size 0
		.amdhsa_kernarg_size 48
		.amdhsa_user_sgpr_count 6
		.amdhsa_user_sgpr_private_segment_buffer 1
		.amdhsa_user_sgpr_dispatch_ptr 0
		.amdhsa_user_sgpr_queue_ptr 0
		.amdhsa_user_sgpr_kernarg_segment_ptr 1
		.amdhsa_user_sgpr_dispatch_id 0
		.amdhsa_user_sgpr_flat_scratch_init 0
		.amdhsa_user_sgpr_kernarg_preload_length 0
		.amdhsa_user_sgpr_kernarg_preload_offset 0
		.amdhsa_user_sgpr_private_segment_size 0
		.amdhsa_uses_dynamic_stack 0
		.amdhsa_system_sgpr_private_segment_wavefront_offset 0
		.amdhsa_system_sgpr_workgroup_id_x 1
		.amdhsa_system_sgpr_workgroup_id_y 0
		.amdhsa_system_sgpr_workgroup_id_z 0
		.amdhsa_system_sgpr_workgroup_info 0
		.amdhsa_system_vgpr_workitem_id 0
		.amdhsa_next_free_vgpr 37
		.amdhsa_next_free_sgpr 16
		.amdhsa_accum_offset 40
		.amdhsa_reserve_vcc 1
		.amdhsa_reserve_flat_scratch 0
		.amdhsa_float_round_mode_32 0
		.amdhsa_float_round_mode_16_64 0
		.amdhsa_float_denorm_mode_32 3
		.amdhsa_float_denorm_mode_16_64 3
		.amdhsa_dx10_clamp 1
		.amdhsa_ieee_mode 1
		.amdhsa_fp16_overflow 0
		.amdhsa_tg_split 0
		.amdhsa_exception_fp_ieee_invalid_op 0
		.amdhsa_exception_fp_denorm_src 0
		.amdhsa_exception_fp_ieee_div_zero 0
		.amdhsa_exception_fp_ieee_overflow 0
		.amdhsa_exception_fp_ieee_underflow 0
		.amdhsa_exception_fp_ieee_inexact 0
		.amdhsa_exception_int_div_zero 0
	.end_amdhsa_kernel
	.section	.text._ZN9rocsparseL49gtsv_nopivot_strided_batch_pcr_pow2_shared_kernelILj32E21rocsparse_complex_numIfEEEviiiPKT0_S5_S5_PS3_,"axG",@progbits,_ZN9rocsparseL49gtsv_nopivot_strided_batch_pcr_pow2_shared_kernelILj32E21rocsparse_complex_numIfEEEviiiPKT0_S5_S5_PS3_,comdat
.Lfunc_end46:
	.size	_ZN9rocsparseL49gtsv_nopivot_strided_batch_pcr_pow2_shared_kernelILj32E21rocsparse_complex_numIfEEEviiiPKT0_S5_S5_PS3_, .Lfunc_end46-_ZN9rocsparseL49gtsv_nopivot_strided_batch_pcr_pow2_shared_kernelILj32E21rocsparse_complex_numIfEEEviiiPKT0_S5_S5_PS3_
                                        ; -- End function
	.section	.AMDGPU.csdata,"",@progbits
; Kernel info:
; codeLenInByte = 2416
; NumSgprs: 20
; NumVgprs: 37
; NumAgprs: 0
; TotalNumVgprs: 37
; ScratchSize: 0
; MemoryBound: 0
; FloatMode: 240
; IeeeMode: 1
; LDSByteSize: 1352 bytes/workgroup (compile time only)
; SGPRBlocks: 2
; VGPRBlocks: 4
; NumSGPRsForWavesPerEU: 20
; NumVGPRsForWavesPerEU: 37
; AccumOffset: 40
; Occupancy: 8
; WaveLimiterHint : 0
; COMPUTE_PGM_RSRC2:SCRATCH_EN: 0
; COMPUTE_PGM_RSRC2:USER_SGPR: 6
; COMPUTE_PGM_RSRC2:TRAP_HANDLER: 0
; COMPUTE_PGM_RSRC2:TGID_X_EN: 1
; COMPUTE_PGM_RSRC2:TGID_Y_EN: 0
; COMPUTE_PGM_RSRC2:TGID_Z_EN: 0
; COMPUTE_PGM_RSRC2:TIDIG_COMP_CNT: 0
; COMPUTE_PGM_RSRC3_GFX90A:ACCUM_OFFSET: 9
; COMPUTE_PGM_RSRC3_GFX90A:TG_SPLIT: 0
	.section	.text._ZN9rocsparseL49gtsv_nopivot_strided_batch_pcr_pow2_shared_kernelILj64E21rocsparse_complex_numIfEEEviiiPKT0_S5_S5_PS3_,"axG",@progbits,_ZN9rocsparseL49gtsv_nopivot_strided_batch_pcr_pow2_shared_kernelILj64E21rocsparse_complex_numIfEEEviiiPKT0_S5_S5_PS3_,comdat
	.globl	_ZN9rocsparseL49gtsv_nopivot_strided_batch_pcr_pow2_shared_kernelILj64E21rocsparse_complex_numIfEEEviiiPKT0_S5_S5_PS3_ ; -- Begin function _ZN9rocsparseL49gtsv_nopivot_strided_batch_pcr_pow2_shared_kernelILj64E21rocsparse_complex_numIfEEEviiiPKT0_S5_S5_PS3_
	.p2align	8
	.type	_ZN9rocsparseL49gtsv_nopivot_strided_batch_pcr_pow2_shared_kernelILj64E21rocsparse_complex_numIfEEEviiiPKT0_S5_S5_PS3_,@function
_ZN9rocsparseL49gtsv_nopivot_strided_batch_pcr_pow2_shared_kernelILj64E21rocsparse_complex_numIfEEEviiiPKT0_S5_S5_PS3_: ; @_ZN9rocsparseL49gtsv_nopivot_strided_batch_pcr_pow2_shared_kernelILj64E21rocsparse_complex_numIfEEEviiiPKT0_S5_S5_PS3_
; %bb.0:
	s_load_dword s0, s[4:5], 0x8
	s_load_dwordx8 s[8:15], s[4:5], 0x10
	v_max_u32_e32 v14, 1, v0
	v_lshlrev_b32_e32 v26, 3, v14
	v_add_u32_e32 v28, -8, v26
	s_waitcnt lgkmcnt(0)
	s_mul_i32 s6, s6, s0
	v_add_u32_e32 v2, s6, v0
	v_ashrrev_i32_e32 v3, 31, v2
	v_lshlrev_b64 v[2:3], 3, v[2:3]
	v_mov_b32_e32 v1, s9
	v_add_co_u32_e32 v4, vcc, s8, v2
	v_addc_co_u32_e32 v5, vcc, v1, v3, vcc
	global_load_dwordx2 v[6:7], v[4:5], off
	v_mov_b32_e32 v1, s11
	v_add_co_u32_e32 v4, vcc, s10, v2
	v_addc_co_u32_e32 v5, vcc, v1, v3, vcc
	global_load_dwordx2 v[8:9], v[4:5], off
	v_mov_b32_e32 v1, s13
	v_add_co_u32_e32 v4, vcc, s12, v2
	v_addc_co_u32_e32 v5, vcc, v1, v3, vcc
	v_mov_b32_e32 v1, s15
	v_add_co_u32_e32 v2, vcc, s14, v2
	v_addc_co_u32_e32 v3, vcc, v1, v3, vcc
	global_load_dwordx2 v[10:11], v[4:5], off
	global_load_dwordx2 v[12:13], v[2:3], off
	v_min_u32_e32 v5, 62, v0
	v_lshlrev_b32_e32 v5, 3, v5
	v_lshlrev_b32_e32 v1, 3, v0
	v_add_u32_e32 v22, 0x400, v5
	v_add_u32_e32 v4, 0x400, v1
	s_waitcnt vmcnt(2)
	ds_write2_b64 v1, v[6:7], v[8:9] offset1:66
	s_waitcnt vmcnt(0)
	ds_write2_b64 v4, v[10:11], v[12:13] offset0:4 offset1:136
	s_waitcnt lgkmcnt(0)
	; wave barrier
	s_waitcnt lgkmcnt(0)
	ds_read2_b64 v[6:9], v1 offset1:66
	ds_read2_b64 v[10:13], v26 offset0:65 offset1:131
	ds_read2_b64 v[14:17], v4 offset0:4 offset1:136
	;; [unrolled: 1-line block ×4, first 2 shown]
	ds_read_b64 v[26:27], v26 offset:2104
	ds_read_b64 v[28:29], v28
	s_waitcnt lgkmcnt(5)
	v_mul_f32_e32 v5, v11, v11
	v_mul_f32_e32 v30, v11, v7
	s_waitcnt lgkmcnt(3)
	v_mul_f32_e32 v31, v21, v21
	v_fmac_f32_e32 v5, v10, v10
	v_mul_f32_e64 v11, v11, -v6
	v_mul_f32_e32 v32, v21, v15
	v_fmac_f32_e32 v30, v6, v10
	v_fmac_f32_e32 v31, v20, v20
	v_div_scale_f32 v6, s[0:1], v5, v5, 1.0
	v_mul_f32_e64 v21, v21, -v14
	v_fmac_f32_e32 v11, v7, v10
	v_fmac_f32_e32 v32, v14, v20
	v_div_scale_f32 v10, s[0:1], v31, v31, 1.0
	v_rcp_f32_e32 v14, v6
	v_fmac_f32_e32 v21, v15, v20
	v_rcp_f32_e32 v15, v10
	v_div_scale_f32 v7, vcc, 1.0, v5, 1.0
	v_fma_f32 v33, -v6, v14, 1.0
	v_fma_f32 v34, -v10, v15, 1.0
	v_fmac_f32_e32 v14, v33, v14
	v_div_scale_f32 v20, s[0:1], 1.0, v31, 1.0
	v_fmac_f32_e32 v15, v34, v15
	v_mul_f32_e32 v33, v7, v14
	v_mul_f32_e32 v34, v20, v15
	v_fma_f32 v35, -v6, v33, v7
	v_fma_f32 v36, -v10, v34, v20
	v_fmac_f32_e32 v33, v35, v14
	v_fmac_f32_e32 v34, v36, v15
	v_fma_f32 v6, -v6, v33, v7
	v_fma_f32 v7, -v10, v34, v20
	v_div_fmas_f32 v6, v6, v14, v33
	s_mov_b64 vcc, s[0:1]
	v_div_fixup_f32 v5, v6, v5, 1.0
	v_div_fmas_f32 v7, v7, v15, v34
	v_mul_f32_e32 v6, v5, v30
	v_mul_f32_e32 v10, v11, v5
	v_div_fixup_f32 v5, v7, v31, 1.0
	v_mul_f32_e32 v14, v5, v32
	v_mul_f32_e32 v20, v21, v5
	s_waitcnt lgkmcnt(0)
	v_pk_mul_f32 v[30:31], v[10:11], v[28:29] op_sel:[0,1] op_sel_hi:[0,0] neg_hi:[0,1]
	v_pk_mul_f32 v[32:33], v[10:11], v[12:13] op_sel:[0,1] op_sel_hi:[0,0] neg_lo:[0,1]
	v_pk_mul_f32 v[10:11], v[10:11], v[26:27] op_sel:[0,1] op_sel_hi:[0,0] neg_lo:[0,1]
	v_pk_fma_f32 v[28:29], v[28:29], v[6:7], v[30:31] op_sel_hi:[1,0,1] neg_lo:[1,0,0] neg_hi:[1,0,0]
	v_pk_fma_f32 v[12:13], v[12:13], v[6:7], v[32:33] op_sel_hi:[1,0,1]
	v_pk_mul_f32 v[30:31], v[20:21], v[18:19] op_sel:[0,1] op_sel_hi:[0,0] neg_lo:[0,1]
	v_pk_fma_f32 v[6:7], v[26:27], v[6:7], v[10:11] op_sel_hi:[1,0,1]
	v_pk_mul_f32 v[10:11], v[20:21], v[24:25] op_sel:[0,1] op_sel_hi:[0,0] neg_lo:[0,1]
	v_pk_add_f32 v[8:9], v[8:9], v[12:13] neg_lo:[0,1] neg_hi:[0,1]
	v_pk_fma_f32 v[12:13], v[18:19], v[14:15], v[30:31] op_sel_hi:[1,0,1]
	v_pk_add_f32 v[6:7], v[16:17], v[6:7] neg_lo:[0,1] neg_hi:[0,1]
	v_pk_fma_f32 v[10:11], v[24:25], v[14:15], v[10:11] op_sel_hi:[1,0,1]
	v_max_u32_e32 v5, 2, v0
	v_pk_mul_f32 v[32:33], v[20:21], v[22:23] op_sel:[0,1] op_sel_hi:[0,0] neg_hi:[0,1]
	v_pk_add_f32 v[8:9], v[8:9], v[12:13] neg_lo:[0,1] neg_hi:[0,1]
	v_pk_add_f32 v[6:7], v[6:7], v[10:11] neg_lo:[0,1] neg_hi:[0,1]
	v_lshlrev_b32_e32 v5, 3, v5
	s_waitcnt lgkmcnt(0)
	; wave barrier
	v_pk_fma_f32 v[18:19], v[22:23], v[14:15], v[32:33] op_sel_hi:[1,0,1] neg_lo:[1,0,0] neg_hi:[1,0,0]
	ds_write2_b64 v1, v[28:29], v[8:9] offset1:66
	ds_write2_b64 v4, v[18:19], v[6:7] offset0:4 offset1:136
	s_waitcnt lgkmcnt(0)
	; wave barrier
	s_waitcnt lgkmcnt(0)
	ds_read2_b64 v[6:9], v5 offset0:64 offset1:130
	v_min_u32_e32 v17, 61, v0
	ds_read2_b64 v[10:13], v1 offset1:66
	v_lshlrev_b32_e32 v29, 3, v17
	v_add_u32_e32 v23, -16, v5
	s_waitcnt lgkmcnt(1)
	v_mul_f32_e32 v14, v7, v7
	v_fmac_f32_e32 v14, v6, v6
	v_div_scale_f32 v15, s[0:1], v14, v14, 1.0
	v_rcp_f32_e32 v16, v15
	v_fma_f32 v18, -v15, v16, 1.0
	v_fmac_f32_e32 v16, v18, v16
	v_div_scale_f32 v18, vcc, 1.0, v14, 1.0
	v_mul_f32_e32 v19, v18, v16
	v_fma_f32 v20, -v15, v19, v18
	v_fmac_f32_e32 v19, v20, v16
	v_fma_f32 v15, -v15, v19, v18
	v_div_fmas_f32 v15, v15, v16, v19
	v_div_fixup_f32 v18, v15, v14, 1.0
	ds_read2_b64 v[14:17], v29 offset0:2 offset1:68
	s_waitcnt lgkmcnt(1)
	v_mul_f32_e32 v19, v7, v11
	v_fmac_f32_e32 v19, v10, v6
	v_mul_f32_e64 v7, v7, -v10
	v_fmac_f32_e32 v7, v11, v6
	s_waitcnt lgkmcnt(0)
	v_mul_f32_e32 v10, v17, v17
	v_fmac_f32_e32 v10, v16, v16
	v_div_scale_f32 v24, s[0:1], v10, v10, 1.0
	v_rcp_f32_e32 v25, v24
	v_mul_f32_e32 v6, v7, v18
	v_mul_f32_e32 v22, v18, v19
	ds_read2_b64 v[18:21], v4 offset0:4 offset1:136
	v_fma_f32 v7, -v24, v25, 1.0
	v_fmac_f32_e32 v25, v7, v25
	v_div_scale_f32 v7, vcc, 1.0, v10, 1.0
	v_mul_f32_e32 v11, v7, v25
	v_fma_f32 v26, -v24, v11, v7
	v_fmac_f32_e32 v11, v26, v25
	v_fma_f32 v7, -v24, v11, v7
	v_div_fmas_f32 v7, v7, v25, v11
	ds_read_b64 v[24:25], v5 offset:2096
	ds_read_b64 v[26:27], v23
	v_div_fixup_f32 v7, v7, v10, 1.0
	s_waitcnt lgkmcnt(2)
	v_mul_f32_e32 v10, v17, v19
	v_mul_f32_e64 v11, v17, -v18
	v_add_u32_e32 v5, 0x400, v29
	v_fmac_f32_e32 v10, v18, v16
	v_fmac_f32_e32 v11, v19, v16
	ds_read2_b64 v[16:19], v5 offset0:6 offset1:138
	s_waitcnt lgkmcnt(1)
	v_pk_mul_f32 v[30:31], v[6:7], v[26:27] op_sel:[0,1] op_sel_hi:[0,0] neg_hi:[0,1]
	v_pk_fma_f32 v[26:27], v[26:27], v[22:23], v[30:31] op_sel_hi:[1,0,1] neg_lo:[1,0,0] neg_hi:[1,0,0]
	v_pk_mul_f32 v[30:31], v[6:7], v[8:9] op_sel:[0,1] op_sel_hi:[0,0] neg_lo:[0,1]
	v_mul_f32_e32 v28, v11, v7
	v_pk_fma_f32 v[8:9], v[8:9], v[22:23], v[30:31] op_sel_hi:[1,0,1]
	v_mul_f32_e32 v10, v7, v10
	v_pk_add_f32 v[8:9], v[12:13], v[8:9] neg_lo:[0,1] neg_hi:[0,1]
	v_pk_mul_f32 v[12:13], v[28:29], v[14:15] op_sel:[0,1] op_sel_hi:[0,0] neg_lo:[0,1]
	v_pk_fma_f32 v[12:13], v[14:15], v[10:11], v[12:13] op_sel_hi:[1,0,1]
	v_pk_mul_f32 v[6:7], v[6:7], v[24:25] op_sel:[0,1] op_sel_hi:[0,0] neg_lo:[0,1]
	v_pk_add_f32 v[8:9], v[8:9], v[12:13] neg_lo:[0,1] neg_hi:[0,1]
	s_waitcnt lgkmcnt(0)
	v_pk_mul_f32 v[12:13], v[28:29], v[16:17] op_sel:[0,1] op_sel_hi:[0,0] neg_hi:[0,1]
	v_pk_fma_f32 v[6:7], v[24:25], v[22:23], v[6:7] op_sel_hi:[1,0,1]
	v_pk_mul_f32 v[14:15], v[28:29], v[18:19] op_sel:[0,1] op_sel_hi:[0,0] neg_lo:[0,1]
	v_pk_fma_f32 v[12:13], v[16:17], v[10:11], v[12:13] op_sel_hi:[1,0,1] neg_lo:[1,0,0] neg_hi:[1,0,0]
	v_pk_add_f32 v[6:7], v[20:21], v[6:7] neg_lo:[0,1] neg_hi:[0,1]
	v_pk_fma_f32 v[10:11], v[18:19], v[10:11], v[14:15] op_sel_hi:[1,0,1]
	v_max_u32_e32 v5, 4, v0
	v_pk_add_f32 v[6:7], v[6:7], v[10:11] neg_lo:[0,1] neg_hi:[0,1]
	v_lshlrev_b32_e32 v5, 3, v5
	s_waitcnt lgkmcnt(0)
	; wave barrier
	ds_write2_b64 v1, v[26:27], v[8:9] offset1:66
	ds_write2_b64 v4, v[12:13], v[6:7] offset0:4 offset1:136
	s_waitcnt lgkmcnt(0)
	; wave barrier
	s_waitcnt lgkmcnt(0)
	ds_read2_b64 v[6:9], v5 offset0:62 offset1:128
	v_min_u32_e32 v17, 59, v0
	ds_read2_b64 v[10:13], v1 offset1:66
	v_lshlrev_b32_e32 v29, 3, v17
	v_subrev_u32_e32 v23, 32, v5
	s_waitcnt lgkmcnt(1)
	v_mul_f32_e32 v14, v7, v7
	v_fmac_f32_e32 v14, v6, v6
	v_div_scale_f32 v15, s[0:1], v14, v14, 1.0
	v_rcp_f32_e32 v16, v15
	v_fma_f32 v18, -v15, v16, 1.0
	v_fmac_f32_e32 v16, v18, v16
	v_div_scale_f32 v18, vcc, 1.0, v14, 1.0
	v_mul_f32_e32 v19, v18, v16
	v_fma_f32 v20, -v15, v19, v18
	v_fmac_f32_e32 v19, v20, v16
	v_fma_f32 v15, -v15, v19, v18
	v_div_fmas_f32 v15, v15, v16, v19
	v_div_fixup_f32 v18, v15, v14, 1.0
	ds_read2_b64 v[14:17], v29 offset0:4 offset1:70
	s_waitcnt lgkmcnt(1)
	v_mul_f32_e32 v19, v7, v11
	v_fmac_f32_e32 v19, v10, v6
	v_mul_f32_e64 v7, v7, -v10
	v_fmac_f32_e32 v7, v11, v6
	s_waitcnt lgkmcnt(0)
	v_mul_f32_e32 v10, v17, v17
	v_fmac_f32_e32 v10, v16, v16
	v_div_scale_f32 v24, s[0:1], v10, v10, 1.0
	v_rcp_f32_e32 v25, v24
	v_mul_f32_e32 v6, v7, v18
	v_mul_f32_e32 v22, v18, v19
	ds_read2_b64 v[18:21], v4 offset0:4 offset1:136
	v_fma_f32 v7, -v24, v25, 1.0
	v_fmac_f32_e32 v25, v7, v25
	v_div_scale_f32 v7, vcc, 1.0, v10, 1.0
	v_mul_f32_e32 v11, v7, v25
	v_fma_f32 v26, -v24, v11, v7
	v_fmac_f32_e32 v11, v26, v25
	v_fma_f32 v7, -v24, v11, v7
	v_div_fmas_f32 v7, v7, v25, v11
	ds_read_b64 v[24:25], v5 offset:2080
	ds_read_b64 v[26:27], v23
	v_div_fixup_f32 v7, v7, v10, 1.0
	s_waitcnt lgkmcnt(2)
	v_mul_f32_e32 v10, v17, v19
	v_mul_f32_e64 v11, v17, -v18
	v_add_u32_e32 v5, 0x400, v29
	v_fmac_f32_e32 v10, v18, v16
	v_fmac_f32_e32 v11, v19, v16
	ds_read2_b64 v[16:19], v5 offset0:8 offset1:140
	s_waitcnt lgkmcnt(1)
	v_pk_mul_f32 v[30:31], v[6:7], v[26:27] op_sel:[0,1] op_sel_hi:[0,0] neg_hi:[0,1]
	v_pk_fma_f32 v[26:27], v[26:27], v[22:23], v[30:31] op_sel_hi:[1,0,1] neg_lo:[1,0,0] neg_hi:[1,0,0]
	v_pk_mul_f32 v[30:31], v[6:7], v[8:9] op_sel:[0,1] op_sel_hi:[0,0] neg_lo:[0,1]
	v_mul_f32_e32 v28, v11, v7
	v_pk_fma_f32 v[8:9], v[8:9], v[22:23], v[30:31] op_sel_hi:[1,0,1]
	v_mul_f32_e32 v10, v7, v10
	v_pk_add_f32 v[8:9], v[12:13], v[8:9] neg_lo:[0,1] neg_hi:[0,1]
	v_pk_mul_f32 v[12:13], v[28:29], v[14:15] op_sel:[0,1] op_sel_hi:[0,0] neg_lo:[0,1]
	v_pk_fma_f32 v[12:13], v[14:15], v[10:11], v[12:13] op_sel_hi:[1,0,1]
	v_pk_mul_f32 v[6:7], v[6:7], v[24:25] op_sel:[0,1] op_sel_hi:[0,0] neg_lo:[0,1]
	v_pk_add_f32 v[8:9], v[8:9], v[12:13] neg_lo:[0,1] neg_hi:[0,1]
	s_waitcnt lgkmcnt(0)
	v_pk_mul_f32 v[12:13], v[28:29], v[16:17] op_sel:[0,1] op_sel_hi:[0,0] neg_hi:[0,1]
	v_pk_fma_f32 v[6:7], v[24:25], v[22:23], v[6:7] op_sel_hi:[1,0,1]
	v_pk_mul_f32 v[14:15], v[28:29], v[18:19] op_sel:[0,1] op_sel_hi:[0,0] neg_lo:[0,1]
	v_pk_fma_f32 v[12:13], v[16:17], v[10:11], v[12:13] op_sel_hi:[1,0,1] neg_lo:[1,0,0] neg_hi:[1,0,0]
	v_pk_add_f32 v[6:7], v[20:21], v[6:7] neg_lo:[0,1] neg_hi:[0,1]
	v_pk_fma_f32 v[10:11], v[18:19], v[10:11], v[14:15] op_sel_hi:[1,0,1]
	v_max_u32_e32 v5, 8, v0
	v_pk_add_f32 v[6:7], v[6:7], v[10:11] neg_lo:[0,1] neg_hi:[0,1]
	v_lshlrev_b32_e32 v5, 3, v5
	s_waitcnt lgkmcnt(0)
	; wave barrier
	ds_write2_b64 v1, v[26:27], v[8:9] offset1:66
	ds_write2_b64 v4, v[12:13], v[6:7] offset0:4 offset1:136
	s_waitcnt lgkmcnt(0)
	; wave barrier
	s_waitcnt lgkmcnt(0)
	ds_read2_b64 v[6:9], v5 offset0:58 offset1:124
	v_min_u32_e32 v17, 55, v0
	ds_read2_b64 v[10:13], v1 offset1:66
	v_lshlrev_b32_e32 v29, 3, v17
	v_subrev_u32_e32 v23, 64, v5
	s_waitcnt lgkmcnt(1)
	v_mul_f32_e32 v14, v7, v7
	v_fmac_f32_e32 v14, v6, v6
	v_div_scale_f32 v15, s[0:1], v14, v14, 1.0
	v_rcp_f32_e32 v16, v15
	v_fma_f32 v18, -v15, v16, 1.0
	v_fmac_f32_e32 v16, v18, v16
	v_div_scale_f32 v18, vcc, 1.0, v14, 1.0
	v_mul_f32_e32 v19, v18, v16
	v_fma_f32 v20, -v15, v19, v18
	v_fmac_f32_e32 v19, v20, v16
	v_fma_f32 v15, -v15, v19, v18
	v_div_fmas_f32 v15, v15, v16, v19
	v_div_fixup_f32 v18, v15, v14, 1.0
	ds_read2_b64 v[14:17], v29 offset0:8 offset1:74
	s_waitcnt lgkmcnt(1)
	v_mul_f32_e32 v19, v7, v11
	v_fmac_f32_e32 v19, v10, v6
	v_mul_f32_e64 v7, v7, -v10
	v_fmac_f32_e32 v7, v11, v6
	s_waitcnt lgkmcnt(0)
	v_mul_f32_e32 v10, v17, v17
	v_fmac_f32_e32 v10, v16, v16
	v_div_scale_f32 v24, s[0:1], v10, v10, 1.0
	v_rcp_f32_e32 v25, v24
	v_mul_f32_e32 v6, v7, v18
	v_mul_f32_e32 v22, v18, v19
	ds_read2_b64 v[18:21], v4 offset0:4 offset1:136
	v_fma_f32 v7, -v24, v25, 1.0
	v_fmac_f32_e32 v25, v7, v25
	v_div_scale_f32 v7, vcc, 1.0, v10, 1.0
	v_mul_f32_e32 v11, v7, v25
	v_fma_f32 v26, -v24, v11, v7
	v_fmac_f32_e32 v11, v26, v25
	v_fma_f32 v7, -v24, v11, v7
	v_div_fmas_f32 v7, v7, v25, v11
	ds_read_b64 v[24:25], v5 offset:2048
	ds_read_b64 v[26:27], v23
	v_div_fixup_f32 v7, v7, v10, 1.0
	s_waitcnt lgkmcnt(2)
	v_mul_f32_e32 v10, v17, v19
	v_mul_f32_e64 v11, v17, -v18
	v_add_u32_e32 v5, 0x400, v29
	v_fmac_f32_e32 v10, v18, v16
	v_fmac_f32_e32 v11, v19, v16
	ds_read2_b64 v[16:19], v5 offset0:12 offset1:144
	s_waitcnt lgkmcnt(1)
	v_pk_mul_f32 v[30:31], v[6:7], v[26:27] op_sel:[0,1] op_sel_hi:[0,0] neg_hi:[0,1]
	v_pk_fma_f32 v[26:27], v[26:27], v[22:23], v[30:31] op_sel_hi:[1,0,1] neg_lo:[1,0,0] neg_hi:[1,0,0]
	v_pk_mul_f32 v[30:31], v[6:7], v[8:9] op_sel:[0,1] op_sel_hi:[0,0] neg_lo:[0,1]
	v_mul_f32_e32 v28, v11, v7
	v_pk_fma_f32 v[8:9], v[8:9], v[22:23], v[30:31] op_sel_hi:[1,0,1]
	v_mul_f32_e32 v10, v7, v10
	v_pk_add_f32 v[8:9], v[12:13], v[8:9] neg_lo:[0,1] neg_hi:[0,1]
	v_pk_mul_f32 v[12:13], v[28:29], v[14:15] op_sel:[0,1] op_sel_hi:[0,0] neg_lo:[0,1]
	v_pk_fma_f32 v[12:13], v[14:15], v[10:11], v[12:13] op_sel_hi:[1,0,1]
	v_pk_mul_f32 v[6:7], v[6:7], v[24:25] op_sel:[0,1] op_sel_hi:[0,0] neg_lo:[0,1]
	v_pk_add_f32 v[8:9], v[8:9], v[12:13] neg_lo:[0,1] neg_hi:[0,1]
	s_waitcnt lgkmcnt(0)
	v_pk_mul_f32 v[12:13], v[28:29], v[16:17] op_sel:[0,1] op_sel_hi:[0,0] neg_hi:[0,1]
	v_pk_fma_f32 v[6:7], v[24:25], v[22:23], v[6:7] op_sel_hi:[1,0,1]
	v_pk_mul_f32 v[14:15], v[28:29], v[18:19] op_sel:[0,1] op_sel_hi:[0,0] neg_lo:[0,1]
	v_pk_fma_f32 v[12:13], v[16:17], v[10:11], v[12:13] op_sel_hi:[1,0,1] neg_lo:[1,0,0] neg_hi:[1,0,0]
	v_pk_add_f32 v[6:7], v[20:21], v[6:7] neg_lo:[0,1] neg_hi:[0,1]
	v_pk_fma_f32 v[10:11], v[18:19], v[10:11], v[14:15] op_sel_hi:[1,0,1]
	v_max_u32_e32 v5, 16, v0
	v_pk_add_f32 v[6:7], v[6:7], v[10:11] neg_lo:[0,1] neg_hi:[0,1]
	v_lshlrev_b32_e32 v5, 3, v5
	s_waitcnt lgkmcnt(0)
	; wave barrier
	ds_write2_b64 v1, v[26:27], v[8:9] offset1:66
	ds_write2_b64 v4, v[12:13], v[6:7] offset0:4 offset1:136
	s_waitcnt lgkmcnt(0)
	; wave barrier
	s_waitcnt lgkmcnt(0)
	ds_read2_b64 v[6:9], v5 offset0:50 offset1:116
	v_min_u32_e32 v17, 47, v0
	ds_read2_b64 v[10:13], v1 offset1:66
	v_lshlrev_b32_e32 v29, 3, v17
	v_add_u32_e32 v23, 0xffffff80, v5
	s_waitcnt lgkmcnt(1)
	v_mul_f32_e32 v14, v7, v7
	v_fmac_f32_e32 v14, v6, v6
	v_div_scale_f32 v15, s[0:1], v14, v14, 1.0
	v_rcp_f32_e32 v16, v15
	v_fma_f32 v18, -v15, v16, 1.0
	v_fmac_f32_e32 v16, v18, v16
	v_div_scale_f32 v18, vcc, 1.0, v14, 1.0
	v_mul_f32_e32 v19, v18, v16
	v_fma_f32 v20, -v15, v19, v18
	v_fmac_f32_e32 v19, v20, v16
	v_fma_f32 v15, -v15, v19, v18
	v_div_fmas_f32 v15, v15, v16, v19
	v_div_fixup_f32 v18, v15, v14, 1.0
	ds_read2_b64 v[14:17], v29 offset0:16 offset1:82
	s_waitcnt lgkmcnt(1)
	v_mul_f32_e32 v19, v7, v11
	v_fmac_f32_e32 v19, v10, v6
	v_mul_f32_e64 v7, v7, -v10
	v_fmac_f32_e32 v7, v11, v6
	s_waitcnt lgkmcnt(0)
	v_mul_f32_e32 v10, v17, v17
	v_fmac_f32_e32 v10, v16, v16
	v_div_scale_f32 v24, s[0:1], v10, v10, 1.0
	v_rcp_f32_e32 v25, v24
	v_mul_f32_e32 v6, v7, v18
	v_mul_f32_e32 v22, v18, v19
	ds_read2_b64 v[18:21], v4 offset0:4 offset1:136
	v_fma_f32 v7, -v24, v25, 1.0
	v_fmac_f32_e32 v25, v7, v25
	v_div_scale_f32 v7, vcc, 1.0, v10, 1.0
	v_mul_f32_e32 v11, v7, v25
	v_fma_f32 v26, -v24, v11, v7
	v_fmac_f32_e32 v11, v26, v25
	v_fma_f32 v7, -v24, v11, v7
	v_div_fmas_f32 v7, v7, v25, v11
	ds_read_b64 v[24:25], v5 offset:1984
	ds_read_b64 v[26:27], v23
	v_div_fixup_f32 v7, v7, v10, 1.0
	s_waitcnt lgkmcnt(2)
	v_mul_f32_e32 v10, v17, v19
	v_mul_f32_e64 v11, v17, -v18
	v_add_u32_e32 v5, 0x400, v29
	v_fmac_f32_e32 v10, v18, v16
	v_fmac_f32_e32 v11, v19, v16
	ds_read2_b64 v[16:19], v5 offset0:20 offset1:152
	s_waitcnt lgkmcnt(1)
	v_pk_mul_f32 v[30:31], v[6:7], v[26:27] op_sel:[0,1] op_sel_hi:[0,0] neg_hi:[0,1]
	v_pk_fma_f32 v[26:27], v[26:27], v[22:23], v[30:31] op_sel_hi:[1,0,1] neg_lo:[1,0,0] neg_hi:[1,0,0]
	v_pk_mul_f32 v[30:31], v[6:7], v[8:9] op_sel:[0,1] op_sel_hi:[0,0] neg_lo:[0,1]
	v_mul_f32_e32 v28, v11, v7
	v_pk_fma_f32 v[8:9], v[8:9], v[22:23], v[30:31] op_sel_hi:[1,0,1]
	v_mul_f32_e32 v10, v7, v10
	v_pk_add_f32 v[8:9], v[12:13], v[8:9] neg_lo:[0,1] neg_hi:[0,1]
	v_pk_mul_f32 v[12:13], v[28:29], v[14:15] op_sel:[0,1] op_sel_hi:[0,0] neg_lo:[0,1]
	v_pk_fma_f32 v[12:13], v[14:15], v[10:11], v[12:13] op_sel_hi:[1,0,1]
	v_pk_mul_f32 v[6:7], v[6:7], v[24:25] op_sel:[0,1] op_sel_hi:[0,0] neg_lo:[0,1]
	v_pk_add_f32 v[8:9], v[8:9], v[12:13] neg_lo:[0,1] neg_hi:[0,1]
	s_waitcnt lgkmcnt(0)
	v_pk_mul_f32 v[12:13], v[28:29], v[16:17] op_sel:[0,1] op_sel_hi:[0,0] neg_hi:[0,1]
	v_pk_fma_f32 v[6:7], v[24:25], v[22:23], v[6:7] op_sel_hi:[1,0,1]
	v_pk_mul_f32 v[14:15], v[28:29], v[18:19] op_sel:[0,1] op_sel_hi:[0,0] neg_lo:[0,1]
	v_pk_fma_f32 v[12:13], v[16:17], v[10:11], v[12:13] op_sel_hi:[1,0,1] neg_lo:[1,0,0] neg_hi:[1,0,0]
	v_pk_add_f32 v[6:7], v[20:21], v[6:7] neg_lo:[0,1] neg_hi:[0,1]
	v_pk_fma_f32 v[10:11], v[18:19], v[10:11], v[14:15] op_sel_hi:[1,0,1]
	v_cmp_gt_u32_e32 vcc, 32, v0
	s_waitcnt lgkmcnt(0)
	; wave barrier
	v_pk_add_f32 v[6:7], v[6:7], v[10:11] neg_lo:[0,1] neg_hi:[0,1]
	ds_write2_b64 v1, v[26:27], v[8:9] offset1:66
	ds_write2_b64 v4, v[12:13], v[6:7] offset0:4 offset1:136
	s_waitcnt lgkmcnt(0)
	; wave barrier
	s_waitcnt lgkmcnt(0)
	s_and_saveexec_b64 s[0:1], vcc
	s_cbranch_execz .LBB47_2
; %bb.1:
	v_add_u32_e32 v0, 0x210, v1
	v_add_u32_e32 v8, 0x420, v1
	ds_read2_b64 v[4:7], v0 offset1:32
	ds_read_b64 v[12:13], v8
	ds_read_b64 v[14:15], v1 offset:256
	s_waitcnt lgkmcnt(2)
	v_pk_mul_f32 v[8:9], v[4:5], v[6:7] op_sel:[1,1] op_sel_hi:[1,0] neg_lo:[0,1]
	v_pk_fma_f32 v[8:9], v[6:7], v[4:5], v[8:9] op_sel_hi:[1,0,1]
	s_waitcnt lgkmcnt(0)
	v_pk_mul_f32 v[10:11], v[14:15], v[12:13] op_sel:[1,1] op_sel_hi:[1,0] neg_lo:[0,1]
	v_pk_fma_f32 v[10:11], v[12:13], v[14:15], v[10:11] op_sel_hi:[1,0,1]
	v_pk_add_f32 v[16:17], v[8:9], v[10:11] neg_lo:[0,1] neg_hi:[0,1]
	v_mul_f32_e32 v0, v17, v17
	v_fmac_f32_e32 v0, v16, v16
	v_div_scale_f32 v18, s[2:3], v0, v0, 1.0
	v_rcp_f32_e32 v19, v18
	v_add_u32_e32 v8, 0x840, v1
	ds_read2_b64 v[8:11], v8 offset1:32
	v_fma_f32 v20, -v18, v19, 1.0
	v_fmac_f32_e32 v19, v20, v19
	v_div_scale_f32 v20, vcc, 1.0, v0, 1.0
	v_mul_f32_e32 v21, v20, v19
	v_fma_f32 v22, -v18, v21, v20
	v_fmac_f32_e32 v21, v22, v19
	v_fma_f32 v18, -v18, v21, v20
	v_div_fmas_f32 v18, v18, v19, v21
	v_div_fixup_f32 v18, v18, v0, 1.0
	v_fma_f32 v0, 0, v17, v16
	v_fma_f32 v16, v16, 0, -v17
	v_mul_f32_e32 v0, v0, v18
	v_mul_f32_e32 v16, v16, v18
	s_waitcnt lgkmcnt(0)
	v_pk_mul_f32 v[18:19], v[8:9], v[6:7] op_sel:[1,1] op_sel_hi:[1,0] neg_lo:[0,1]
	v_pk_fma_f32 v[6:7], v[6:7], v[8:9], v[18:19] op_sel_hi:[1,0,1]
	v_pk_mul_f32 v[18:19], v[10:11], v[12:13] op_sel:[1,1] op_sel_hi:[1,0] neg_lo:[0,1]
	v_pk_fma_f32 v[12:13], v[12:13], v[10:11], v[18:19] op_sel_hi:[1,0,1]
	v_pk_add_f32 v[6:7], v[6:7], v[12:13] neg_lo:[0,1] neg_hi:[0,1]
	v_pk_mul_f32 v[12:13], v[16:17], v[6:7] op_sel:[0,1] op_sel_hi:[0,0] neg_lo:[0,1]
	v_pk_fma_f32 v[6:7], v[6:7], v[0:1], v[12:13] op_sel_hi:[1,0,1]
	v_pk_mul_f32 v[12:13], v[4:5], v[10:11] op_sel:[1,1] op_sel_hi:[1,0] neg_lo:[0,1]
	v_pk_fma_f32 v[4:5], v[10:11], v[4:5], v[12:13] op_sel_hi:[1,0,1]
	;; [unrolled: 2-line block ×3, first 2 shown]
	v_pk_add_f32 v[4:5], v[4:5], v[8:9] neg_lo:[0,1] neg_hi:[0,1]
	v_pk_mul_f32 v[8:9], v[16:17], v[4:5] op_sel:[0,1] op_sel_hi:[0,0] neg_lo:[0,1]
	v_pk_fma_f32 v[4:5], v[4:5], v[0:1], v[8:9] op_sel_hi:[1,0,1]
	ds_write2_b64 v1, v[6:7], v[4:5] offset0:198 offset1:230
.LBB47_2:
	s_or_b64 exec, exec, s[0:1]
	s_waitcnt lgkmcnt(0)
	; wave barrier
	s_waitcnt lgkmcnt(0)
	ds_read_b64 v[0:1], v1 offset:1584
	s_waitcnt lgkmcnt(0)
	global_store_dwordx2 v[2:3], v[0:1], off
	s_endpgm
	.section	.rodata,"a",@progbits
	.p2align	6, 0x0
	.amdhsa_kernel _ZN9rocsparseL49gtsv_nopivot_strided_batch_pcr_pow2_shared_kernelILj64E21rocsparse_complex_numIfEEEviiiPKT0_S5_S5_PS3_
		.amdhsa_group_segment_fixed_size 2632
		.amdhsa_private_segment_fixed_size 0
		.amdhsa_kernarg_size 48
		.amdhsa_user_sgpr_count 6
		.amdhsa_user_sgpr_private_segment_buffer 1
		.amdhsa_user_sgpr_dispatch_ptr 0
		.amdhsa_user_sgpr_queue_ptr 0
		.amdhsa_user_sgpr_kernarg_segment_ptr 1
		.amdhsa_user_sgpr_dispatch_id 0
		.amdhsa_user_sgpr_flat_scratch_init 0
		.amdhsa_user_sgpr_kernarg_preload_length 0
		.amdhsa_user_sgpr_kernarg_preload_offset 0
		.amdhsa_user_sgpr_private_segment_size 0
		.amdhsa_uses_dynamic_stack 0
		.amdhsa_system_sgpr_private_segment_wavefront_offset 0
		.amdhsa_system_sgpr_workgroup_id_x 1
		.amdhsa_system_sgpr_workgroup_id_y 0
		.amdhsa_system_sgpr_workgroup_id_z 0
		.amdhsa_system_sgpr_workgroup_info 0
		.amdhsa_system_vgpr_workitem_id 0
		.amdhsa_next_free_vgpr 37
		.amdhsa_next_free_sgpr 16
		.amdhsa_accum_offset 40
		.amdhsa_reserve_vcc 1
		.amdhsa_reserve_flat_scratch 0
		.amdhsa_float_round_mode_32 0
		.amdhsa_float_round_mode_16_64 0
		.amdhsa_float_denorm_mode_32 3
		.amdhsa_float_denorm_mode_16_64 3
		.amdhsa_dx10_clamp 1
		.amdhsa_ieee_mode 1
		.amdhsa_fp16_overflow 0
		.amdhsa_tg_split 0
		.amdhsa_exception_fp_ieee_invalid_op 0
		.amdhsa_exception_fp_denorm_src 0
		.amdhsa_exception_fp_ieee_div_zero 0
		.amdhsa_exception_fp_ieee_overflow 0
		.amdhsa_exception_fp_ieee_underflow 0
		.amdhsa_exception_fp_ieee_inexact 0
		.amdhsa_exception_int_div_zero 0
	.end_amdhsa_kernel
	.section	.text._ZN9rocsparseL49gtsv_nopivot_strided_batch_pcr_pow2_shared_kernelILj64E21rocsparse_complex_numIfEEEviiiPKT0_S5_S5_PS3_,"axG",@progbits,_ZN9rocsparseL49gtsv_nopivot_strided_batch_pcr_pow2_shared_kernelILj64E21rocsparse_complex_numIfEEEviiiPKT0_S5_S5_PS3_,comdat
.Lfunc_end47:
	.size	_ZN9rocsparseL49gtsv_nopivot_strided_batch_pcr_pow2_shared_kernelILj64E21rocsparse_complex_numIfEEEviiiPKT0_S5_S5_PS3_, .Lfunc_end47-_ZN9rocsparseL49gtsv_nopivot_strided_batch_pcr_pow2_shared_kernelILj64E21rocsparse_complex_numIfEEEviiiPKT0_S5_S5_PS3_
                                        ; -- End function
	.section	.AMDGPU.csdata,"",@progbits
; Kernel info:
; codeLenInByte = 2940
; NumSgprs: 20
; NumVgprs: 37
; NumAgprs: 0
; TotalNumVgprs: 37
; ScratchSize: 0
; MemoryBound: 0
; FloatMode: 240
; IeeeMode: 1
; LDSByteSize: 2632 bytes/workgroup (compile time only)
; SGPRBlocks: 2
; VGPRBlocks: 4
; NumSGPRsForWavesPerEU: 20
; NumVGPRsForWavesPerEU: 37
; AccumOffset: 40
; Occupancy: 6
; WaveLimiterHint : 0
; COMPUTE_PGM_RSRC2:SCRATCH_EN: 0
; COMPUTE_PGM_RSRC2:USER_SGPR: 6
; COMPUTE_PGM_RSRC2:TRAP_HANDLER: 0
; COMPUTE_PGM_RSRC2:TGID_X_EN: 1
; COMPUTE_PGM_RSRC2:TGID_Y_EN: 0
; COMPUTE_PGM_RSRC2:TGID_Z_EN: 0
; COMPUTE_PGM_RSRC2:TIDIG_COMP_CNT: 0
; COMPUTE_PGM_RSRC3_GFX90A:ACCUM_OFFSET: 9
; COMPUTE_PGM_RSRC3_GFX90A:TG_SPLIT: 0
	.section	.text._ZN9rocsparseL51gtsv_nopivot_strided_batch_crpcr_pow2_shared_kernelILj64ELj64E21rocsparse_complex_numIfEEEviiiPKT1_S5_S5_PS3_,"axG",@progbits,_ZN9rocsparseL51gtsv_nopivot_strided_batch_crpcr_pow2_shared_kernelILj64ELj64E21rocsparse_complex_numIfEEEviiiPKT1_S5_S5_PS3_,comdat
	.globl	_ZN9rocsparseL51gtsv_nopivot_strided_batch_crpcr_pow2_shared_kernelILj64ELj64E21rocsparse_complex_numIfEEEviiiPKT1_S5_S5_PS3_ ; -- Begin function _ZN9rocsparseL51gtsv_nopivot_strided_batch_crpcr_pow2_shared_kernelILj64ELj64E21rocsparse_complex_numIfEEEviiiPKT1_S5_S5_PS3_
	.p2align	8
	.type	_ZN9rocsparseL51gtsv_nopivot_strided_batch_crpcr_pow2_shared_kernelILj64ELj64E21rocsparse_complex_numIfEEEviiiPKT1_S5_S5_PS3_,@function
_ZN9rocsparseL51gtsv_nopivot_strided_batch_crpcr_pow2_shared_kernelILj64ELj64E21rocsparse_complex_numIfEEEviiiPKT1_S5_S5_PS3_: ; @_ZN9rocsparseL51gtsv_nopivot_strided_batch_crpcr_pow2_shared_kernelILj64ELj64E21rocsparse_complex_numIfEEEviiiPKT1_S5_S5_PS3_
; %bb.0:
	s_load_dword s0, s[4:5], 0x8
	s_load_dwordx8 s[8:15], s[4:5], 0x10
	v_lshlrev_b32_e32 v14, 3, v0
	s_waitcnt lgkmcnt(0)
	s_mul_i32 s6, s6, s0
	v_add_u32_e32 v2, s6, v0
	v_ashrrev_i32_e32 v3, 31, v2
	v_lshlrev_b64 v[4:5], 3, v[2:3]
	v_mov_b32_e32 v1, s9
	v_add_co_u32_e32 v6, vcc, s8, v4
	v_add_u32_e32 v2, 64, v2
	v_mov_b32_e32 v3, 0
	v_addc_co_u32_e32 v7, vcc, v1, v5, vcc
	v_lshlrev_b64 v[8:9], 3, v[2:3]
	v_add_co_u32_e32 v2, vcc, s8, v8
	v_addc_co_u32_e32 v3, vcc, v1, v9, vcc
	global_load_dwordx2 v[10:11], v[6:7], off
	global_load_dwordx2 v[12:13], v[2:3], off
	v_mov_b32_e32 v1, s11
	v_add_co_u32_e32 v2, vcc, s10, v4
	v_addc_co_u32_e32 v3, vcc, v1, v5, vcc
	v_add_co_u32_e32 v6, vcc, s10, v8
	v_addc_co_u32_e32 v7, vcc, v1, v9, vcc
	global_load_dwordx2 v[16:17], v[2:3], off
	global_load_dwordx2 v[18:19], v[6:7], off
	v_mov_b32_e32 v1, s13
	v_add_co_u32_e32 v2, vcc, s12, v4
	v_addc_co_u32_e32 v3, vcc, v1, v5, vcc
	;; [unrolled: 7-line block ×3, first 2 shown]
	v_add_co_u32_e32 v4, vcc, s14, v8
	v_addc_co_u32_e32 v5, vcc, v1, v9, vcc
	global_load_dwordx2 v[6:7], v[2:3], off
	global_load_dwordx2 v[8:9], v[4:5], off
	v_cmp_gt_u32_e64 s[0:1], 64, v0
	v_lshlrev_b32_e32 v1, 1, v0
	s_waitcnt vmcnt(6)
	ds_write2st64_b64 v14, v[10:11], v[12:13] offset1:1
	s_waitcnt vmcnt(4)
	ds_write2st64_b64 v14, v[16:17], v[18:19] offset0:2 offset1:3
	s_waitcnt vmcnt(2)
	ds_write2st64_b64 v14, v[20:21], v[22:23] offset0:4 offset1:5
	;; [unrolled: 2-line block ×3, first 2 shown]
	s_waitcnt lgkmcnt(0)
	; wave barrier
	s_waitcnt lgkmcnt(0)
	s_and_saveexec_b64 s[2:3], s[0:1]
	s_cbranch_execz .LBB48_2
; %bb.1:
	v_or_b32_e32 v6, 0x400, v14
	v_add_u32_e32 v15, v6, v14
	ds_read2_b64 v[6:9], v15 offset1:1
	v_min_u32_e32 v19, 0x7d, v1
	v_add_u32_e32 v29, v14, v14
	v_lshlrev_b32_e32 v31, 3, v19
	ds_read2_b64 v[10:13], v29 offset1:1
	s_waitcnt lgkmcnt(1)
	v_mul_f32_e32 v16, v7, v7
	v_fmac_f32_e32 v16, v6, v6
	v_div_scale_f32 v17, s[4:5], v16, v16, 1.0
	v_rcp_f32_e32 v18, v17
	v_or_b32_e32 v20, 0x800, v14
	v_or_b32_e32 v24, 0x1000, v14
	v_add_u32_e32 v32, v24, v14
	v_fma_f32 v21, -v17, v18, 1.0
	v_fmac_f32_e32 v18, v21, v18
	v_div_scale_f32 v21, vcc, 1.0, v16, 1.0
	v_mul_f32_e32 v22, v21, v18
	v_fma_f32 v23, -v17, v22, v21
	v_fmac_f32_e32 v22, v23, v18
	v_fma_f32 v17, -v17, v22, v21
	v_div_fmas_f32 v17, v17, v18, v22
	v_div_fixup_f32 v21, v17, v16, 1.0
	ds_read2_b64 v[16:19], v31 offset0:2 offset1:130
	s_waitcnt lgkmcnt(1)
	v_mul_f32_e32 v22, v7, v13
	v_fmac_f32_e32 v22, v12, v6
	v_mul_f32_e32 v28, v21, v22
	v_mul_f32_e64 v7, v7, -v12
	s_waitcnt lgkmcnt(0)
	v_mul_f32_e32 v25, v19, v19
	v_fmac_f32_e32 v25, v18, v18
	v_div_scale_f32 v22, s[4:5], v25, v25, 1.0
	v_rcp_f32_e32 v26, v22
	v_fmac_f32_e32 v7, v13, v6
	v_mul_f32_e32 v12, v7, v21
	v_add_u32_e32 v13, v20, v14
	v_fma_f32 v6, -v22, v26, 1.0
	v_fmac_f32_e32 v26, v6, v26
	v_div_scale_f32 v6, vcc, 1.0, v25, 1.0
	v_mul_f32_e32 v7, v6, v26
	v_fma_f32 v20, -v22, v7, v6
	v_fmac_f32_e32 v7, v20, v26
	v_fma_f32 v6, -v22, v7, v6
	ds_read_b128 v[20:23], v13
	v_div_fmas_f32 v6, v6, v26, v7
	v_div_fixup_f32 v6, v6, v25, 1.0
	ds_read_b128 v[24:27], v32
	s_waitcnt lgkmcnt(1)
	v_mul_f32_e32 v7, v19, v23
	v_fmac_f32_e32 v7, v22, v18
	v_mul_f32_e32 v30, v6, v7
	v_mul_f32_e64 v7, v19, -v22
	v_fmac_f32_e32 v7, v23, v18
	v_mul_f32_e32 v18, v7, v6
	v_pk_mul_f32 v[6:7], v[12:13], v[20:21] op_sel:[0,1] op_sel_hi:[0,0] neg_lo:[0,1]
	v_pk_fma_f32 v[6:7], v[20:21], v[28:29], v[6:7] op_sel_hi:[1,0,1]
	v_pk_add_f32 v[6:7], v[8:9], v[6:7] neg_lo:[0,1] neg_hi:[0,1]
	v_pk_mul_f32 v[8:9], v[18:19], v[16:17] op_sel:[0,1] op_sel_hi:[0,0] neg_lo:[0,1]
	v_pk_fma_f32 v[8:9], v[16:17], v[30:31], v[8:9] op_sel_hi:[1,0,1]
	v_pk_add_f32 v[16:17], v[6:7], v[8:9] neg_lo:[0,1] neg_hi:[0,1]
	v_add_u32_e32 v6, 16, v31
	ds_read2st64_b64 v[6:9], v6 offset0:4 offset1:8
	ds_write_b64 v15, v[16:17] offset:8
	s_waitcnt lgkmcnt(2)
	v_pk_mul_f32 v[16:17], v[12:13], v[24:25] op_sel:[0,1] op_sel_hi:[0,0] neg_lo:[0,1]
	v_pk_fma_f32 v[16:17], v[24:25], v[28:29], v[16:17] op_sel_hi:[1,0,1]
	v_pk_add_f32 v[16:17], v[26:27], v[16:17] neg_lo:[0,1] neg_hi:[0,1]
	s_waitcnt lgkmcnt(1)
	v_pk_mul_f32 v[20:21], v[18:19], v[8:9] op_sel:[0,1] op_sel_hi:[0,0] neg_lo:[0,1]
	v_pk_fma_f32 v[8:9], v[8:9], v[30:31], v[20:21] op_sel_hi:[1,0,1]
	v_pk_add_f32 v[8:9], v[16:17], v[8:9] neg_lo:[0,1] neg_hi:[0,1]
	ds_write_b64 v32, v[8:9] offset:8
	v_pk_mul_f32 v[8:9], v[12:13], v[10:11] op_sel:[0,1] op_sel_hi:[0,0] neg_hi:[0,1]
	v_pk_fma_f32 v[8:9], v[10:11], v[28:29], v[8:9] op_sel_hi:[1,0,1] neg_lo:[1,0,0] neg_hi:[1,0,0]
	ds_write_b64 v29, v[8:9] offset:8
	v_pk_mul_f32 v[8:9], v[18:19], v[6:7] op_sel:[0,1] op_sel_hi:[0,0] neg_hi:[0,1]
	v_pk_fma_f32 v[6:7], v[6:7], v[30:31], v[8:9] op_sel_hi:[1,0,1] neg_lo:[1,0,0] neg_hi:[1,0,0]
	ds_write_b64 v13, v[6:7] offset:8
.LBB48_2:
	s_or_b64 exec, exec, s[2:3]
	v_lshlrev_b32_e32 v15, 4, v0
	s_waitcnt lgkmcnt(0)
	; wave barrier
	s_waitcnt lgkmcnt(0)
	s_and_saveexec_b64 s[2:3], s[0:1]
	s_cbranch_execz .LBB48_4
; %bb.3:
	ds_read2_b64 v[6:9], v15 offset0:1 offset1:129
	v_add_u32_e32 v10, 8, v15
	ds_read2st64_b64 v[10:13], v10 offset0:4 offset1:8
	s_waitcnt lgkmcnt(1)
	ds_write2st64_b64 v14, v[6:7], v[8:9] offset0:10 offset1:11
	s_waitcnt lgkmcnt(1)
	ds_write2st64_b64 v14, v[10:11], v[12:13] offset0:12 offset1:14
.LBB48_4:
	s_or_b64 exec, exec, s[2:3]
	v_or_b32_e32 v17, 0x1400, v14
	v_or_b32_e32 v18, 0x1800, v14
	;; [unrolled: 1-line block ×4, first 2 shown]
	s_waitcnt lgkmcnt(0)
	; wave barrier
	s_waitcnt lgkmcnt(0)
                                        ; implicit-def: $vgpr6_vgpr7
                                        ; implicit-def: $vgpr8_vgpr9
                                        ; implicit-def: $vgpr10_vgpr11
                                        ; implicit-def: $vgpr12_vgpr13
	s_and_saveexec_b64 s[2:3], s[0:1]
	s_cbranch_execz .LBB48_6
; %bb.5:
	v_max_u32_e32 v6, 1, v0
	v_lshlrev_b32_e32 v6, 3, v6
	v_add_u32_e32 v22, 0x1f8, v6
	ds_read2st64_b64 v[10:13], v22 offset0:9 offset1:10
	v_min_u32_e32 v6, 62, v0
	v_lshlrev_b32_e32 v6, 3, v6
	v_add_u32_e32 v31, 8, v6
	s_waitcnt lgkmcnt(0)
	v_mul_f32_e32 v7, v13, v13
	v_fmac_f32_e32 v7, v12, v12
	v_div_scale_f32 v8, s[4:5], v7, v7, 1.0
	v_rcp_f32_e32 v9, v8
	v_div_scale_f32 v6, vcc, 1.0, v7, 1.0
	v_fma_f32 v20, -v8, v9, 1.0
	v_fmac_f32_e32 v9, v20, v9
	v_mul_f32_e32 v20, v6, v9
	v_fma_f32 v21, -v8, v20, v6
	v_fmac_f32_e32 v20, v21, v9
	v_fma_f32 v6, -v8, v20, v6
	v_div_fmas_f32 v6, v6, v9, v20
	v_div_fixup_f32 v23, v6, v7, 1.0
	ds_read_b64 v[20:21], v17
	ds_read2st64_b64 v[6:9], v31 offset0:10 offset1:11
	ds_read_b64 v[24:25], v18
	ds_read_b64 v[26:27], v19
	ds_read_b64 v[28:29], v16
	s_waitcnt lgkmcnt(4)
	v_mul_f32_e32 v30, v13, v21
	s_waitcnt lgkmcnt(3)
	v_mul_f32_e32 v32, v9, v9
	v_fmac_f32_e32 v32, v8, v8
	v_div_scale_f32 v33, s[4:5], v32, v32, 1.0
	v_rcp_f32_e32 v34, v33
	v_mul_f32_e64 v13, v13, -v20
	v_fmac_f32_e32 v13, v21, v12
	v_fmac_f32_e32 v30, v20, v12
	v_mul_f32_e32 v12, v13, v23
	v_fma_f32 v13, -v33, v34, 1.0
	v_fmac_f32_e32 v34, v13, v34
	v_div_scale_f32 v13, vcc, 1.0, v32, 1.0
	v_mul_f32_e32 v20, v13, v34
	v_fma_f32 v21, -v33, v20, v13
	v_fmac_f32_e32 v20, v21, v34
	v_fma_f32 v13, -v33, v20, v13
	v_mul_f32_e32 v30, v23, v30
	v_div_fmas_f32 v13, v13, v34, v20
	ds_read2st64_b64 v[20:23], v22 offset0:11 offset1:13
	v_div_fixup_f32 v13, v13, v32, 1.0
	s_waitcnt lgkmcnt(3)
	v_mul_f32_e32 v32, v9, v25
	v_mul_f32_e64 v9, v9, -v24
	v_fmac_f32_e32 v9, v25, v8
	v_fmac_f32_e32 v32, v24, v8
	v_mul_f32_e32 v34, v9, v13
	s_waitcnt lgkmcnt(0)
	v_pk_mul_f32 v[8:9], v[12:13], v[20:21] op_sel:[0,1] op_sel_hi:[0,0] neg_lo:[0,1]
	v_pk_fma_f32 v[8:9], v[20:21], v[30:31], v[8:9] op_sel_hi:[1,0,1]
	v_pk_add_f32 v[8:9], v[26:27], v[8:9] neg_lo:[0,1] neg_hi:[0,1]
	ds_read2st64_b64 v[24:27], v31 offset0:12 offset1:14
	v_mul_f32_e32 v32, v13, v32
	v_pk_mul_f32 v[20:21], v[34:35], v[6:7] op_sel:[0,1] op_sel_hi:[0,0] neg_lo:[0,1]
	v_pk_fma_f32 v[6:7], v[6:7], v[32:33], v[20:21] op_sel_hi:[1,0,1]
	v_pk_add_f32 v[6:7], v[8:9], v[6:7] neg_lo:[0,1] neg_hi:[0,1]
	v_pk_mul_f32 v[8:9], v[12:13], v[22:23] op_sel:[0,1] op_sel_hi:[0,0] neg_lo:[0,1]
	v_pk_fma_f32 v[8:9], v[22:23], v[30:31], v[8:9] op_sel_hi:[1,0,1]
	s_waitcnt lgkmcnt(0)
	v_pk_mul_f32 v[20:21], v[34:35], v[26:27] op_sel:[0,1] op_sel_hi:[0,0] neg_lo:[0,1]
	v_pk_mul_f32 v[12:13], v[12:13], v[10:11] op_sel:[0,1] op_sel_hi:[0,0] neg_hi:[0,1]
	v_pk_add_f32 v[8:9], v[28:29], v[8:9] neg_lo:[0,1] neg_hi:[0,1]
	v_pk_fma_f32 v[20:21], v[26:27], v[32:33], v[20:21] op_sel_hi:[1,0,1]
	v_pk_fma_f32 v[10:11], v[10:11], v[30:31], v[12:13] op_sel_hi:[1,0,1] neg_lo:[1,0,0] neg_hi:[1,0,0]
	v_pk_mul_f32 v[12:13], v[34:35], v[24:25] op_sel:[0,1] op_sel_hi:[0,0] neg_hi:[0,1]
	v_pk_add_f32 v[8:9], v[8:9], v[20:21] neg_lo:[0,1] neg_hi:[0,1]
	v_pk_fma_f32 v[12:13], v[24:25], v[32:33], v[12:13] op_sel_hi:[1,0,1] neg_lo:[1,0,0] neg_hi:[1,0,0]
.LBB48_6:
	s_or_b64 exec, exec, s[2:3]
	s_waitcnt lgkmcnt(0)
	; wave barrier
	s_waitcnt lgkmcnt(0)
	s_and_saveexec_b64 s[2:3], s[0:1]
	s_cbranch_execz .LBB48_8
; %bb.7:
	ds_write_b64 v19, v[6:7]
	ds_write_b64 v16, v[8:9]
	;; [unrolled: 1-line block ×4, first 2 shown]
.LBB48_8:
	s_or_b64 exec, exec, s[2:3]
	s_waitcnt lgkmcnt(0)
	; wave barrier
	s_waitcnt lgkmcnt(0)
	s_and_saveexec_b64 s[2:3], s[0:1]
	s_cbranch_execz .LBB48_10
; %bb.9:
	v_max_u32_e32 v6, 2, v0
	v_lshlrev_b32_e32 v6, 3, v6
	v_add_u32_e32 v22, 0x1f0, v6
	ds_read2st64_b64 v[10:13], v22 offset0:9 offset1:10
	v_min_u32_e32 v6, 61, v0
	v_lshlrev_b32_e32 v6, 3, v6
	v_add_u32_e32 v31, 16, v6
	s_waitcnt lgkmcnt(0)
	v_mul_f32_e32 v7, v13, v13
	v_fmac_f32_e32 v7, v12, v12
	v_div_scale_f32 v8, s[4:5], v7, v7, 1.0
	v_rcp_f32_e32 v9, v8
	v_div_scale_f32 v6, vcc, 1.0, v7, 1.0
	v_fma_f32 v20, -v8, v9, 1.0
	v_fmac_f32_e32 v9, v20, v9
	v_mul_f32_e32 v20, v6, v9
	v_fma_f32 v21, -v8, v20, v6
	v_fmac_f32_e32 v20, v21, v9
	v_fma_f32 v6, -v8, v20, v6
	v_div_fmas_f32 v6, v6, v9, v20
	v_div_fixup_f32 v23, v6, v7, 1.0
	ds_read_b64 v[20:21], v17
	ds_read2st64_b64 v[6:9], v31 offset0:10 offset1:11
	ds_read_b64 v[24:25], v18
	ds_read_b64 v[26:27], v19
	;; [unrolled: 1-line block ×3, first 2 shown]
	s_waitcnt lgkmcnt(4)
	v_mul_f32_e32 v30, v13, v21
	s_waitcnt lgkmcnt(3)
	v_mul_f32_e32 v32, v9, v9
	v_fmac_f32_e32 v32, v8, v8
	v_div_scale_f32 v33, s[4:5], v32, v32, 1.0
	v_rcp_f32_e32 v34, v33
	v_mul_f32_e64 v13, v13, -v20
	v_fmac_f32_e32 v13, v21, v12
	v_fmac_f32_e32 v30, v20, v12
	v_mul_f32_e32 v12, v13, v23
	v_fma_f32 v13, -v33, v34, 1.0
	v_fmac_f32_e32 v34, v13, v34
	v_div_scale_f32 v13, vcc, 1.0, v32, 1.0
	v_mul_f32_e32 v20, v13, v34
	v_fma_f32 v21, -v33, v20, v13
	v_fmac_f32_e32 v20, v21, v34
	v_fma_f32 v13, -v33, v20, v13
	v_mul_f32_e32 v30, v23, v30
	v_div_fmas_f32 v13, v13, v34, v20
	ds_read2st64_b64 v[20:23], v22 offset0:11 offset1:13
	v_div_fixup_f32 v13, v13, v32, 1.0
	s_waitcnt lgkmcnt(3)
	v_mul_f32_e32 v32, v9, v25
	v_mul_f32_e64 v9, v9, -v24
	v_fmac_f32_e32 v9, v25, v8
	v_fmac_f32_e32 v32, v24, v8
	v_mul_f32_e32 v34, v9, v13
	s_waitcnt lgkmcnt(0)
	v_pk_mul_f32 v[8:9], v[12:13], v[20:21] op_sel:[0,1] op_sel_hi:[0,0] neg_lo:[0,1]
	v_pk_fma_f32 v[8:9], v[20:21], v[30:31], v[8:9] op_sel_hi:[1,0,1]
	v_pk_add_f32 v[8:9], v[26:27], v[8:9] neg_lo:[0,1] neg_hi:[0,1]
	ds_read2st64_b64 v[24:27], v31 offset0:12 offset1:14
	v_mul_f32_e32 v32, v13, v32
	v_pk_mul_f32 v[20:21], v[34:35], v[6:7] op_sel:[0,1] op_sel_hi:[0,0] neg_lo:[0,1]
	v_pk_fma_f32 v[6:7], v[6:7], v[32:33], v[20:21] op_sel_hi:[1,0,1]
	v_pk_add_f32 v[6:7], v[8:9], v[6:7] neg_lo:[0,1] neg_hi:[0,1]
	v_pk_mul_f32 v[8:9], v[12:13], v[22:23] op_sel:[0,1] op_sel_hi:[0,0] neg_lo:[0,1]
	v_pk_fma_f32 v[8:9], v[22:23], v[30:31], v[8:9] op_sel_hi:[1,0,1]
	s_waitcnt lgkmcnt(0)
	v_pk_mul_f32 v[20:21], v[34:35], v[26:27] op_sel:[0,1] op_sel_hi:[0,0] neg_lo:[0,1]
	v_pk_mul_f32 v[12:13], v[12:13], v[10:11] op_sel:[0,1] op_sel_hi:[0,0] neg_hi:[0,1]
	v_pk_add_f32 v[8:9], v[28:29], v[8:9] neg_lo:[0,1] neg_hi:[0,1]
	v_pk_fma_f32 v[20:21], v[26:27], v[32:33], v[20:21] op_sel_hi:[1,0,1]
	v_pk_fma_f32 v[10:11], v[10:11], v[30:31], v[12:13] op_sel_hi:[1,0,1] neg_lo:[1,0,0] neg_hi:[1,0,0]
	v_pk_mul_f32 v[12:13], v[34:35], v[24:25] op_sel:[0,1] op_sel_hi:[0,0] neg_hi:[0,1]
	v_pk_add_f32 v[8:9], v[8:9], v[20:21] neg_lo:[0,1] neg_hi:[0,1]
	v_pk_fma_f32 v[12:13], v[24:25], v[32:33], v[12:13] op_sel_hi:[1,0,1] neg_lo:[1,0,0] neg_hi:[1,0,0]
.LBB48_10:
	s_or_b64 exec, exec, s[2:3]
	s_waitcnt lgkmcnt(0)
	; wave barrier
	s_and_saveexec_b64 s[2:3], s[0:1]
	s_cbranch_execz .LBB48_12
; %bb.11:
	ds_write_b64 v19, v[6:7]
	ds_write_b64 v16, v[8:9]
	;; [unrolled: 1-line block ×4, first 2 shown]
.LBB48_12:
	s_or_b64 exec, exec, s[2:3]
	s_waitcnt lgkmcnt(0)
	; wave barrier
	s_waitcnt lgkmcnt(0)
	s_and_saveexec_b64 s[2:3], s[0:1]
	s_cbranch_execz .LBB48_14
; %bb.13:
	v_max_u32_e32 v6, 4, v0
	v_lshlrev_b32_e32 v6, 3, v6
	v_add_u32_e32 v22, 0x1e0, v6
	ds_read2st64_b64 v[10:13], v22 offset0:9 offset1:10
	v_min_u32_e32 v6, 59, v0
	v_lshlrev_b32_e32 v6, 3, v6
	v_add_u32_e32 v31, 32, v6
	s_waitcnt lgkmcnt(0)
	v_mul_f32_e32 v7, v13, v13
	v_fmac_f32_e32 v7, v12, v12
	v_div_scale_f32 v8, s[4:5], v7, v7, 1.0
	v_rcp_f32_e32 v9, v8
	v_div_scale_f32 v6, vcc, 1.0, v7, 1.0
	v_fma_f32 v20, -v8, v9, 1.0
	v_fmac_f32_e32 v9, v20, v9
	v_mul_f32_e32 v20, v6, v9
	v_fma_f32 v21, -v8, v20, v6
	v_fmac_f32_e32 v20, v21, v9
	v_fma_f32 v6, -v8, v20, v6
	v_div_fmas_f32 v6, v6, v9, v20
	v_div_fixup_f32 v23, v6, v7, 1.0
	ds_read_b64 v[20:21], v17
	ds_read2st64_b64 v[6:9], v31 offset0:10 offset1:11
	ds_read_b64 v[24:25], v18
	ds_read_b64 v[26:27], v19
	;; [unrolled: 1-line block ×3, first 2 shown]
	s_waitcnt lgkmcnt(4)
	v_mul_f32_e32 v30, v13, v21
	s_waitcnt lgkmcnt(3)
	v_mul_f32_e32 v32, v9, v9
	v_fmac_f32_e32 v32, v8, v8
	v_div_scale_f32 v33, s[4:5], v32, v32, 1.0
	v_rcp_f32_e32 v34, v33
	v_mul_f32_e64 v13, v13, -v20
	v_fmac_f32_e32 v13, v21, v12
	v_fmac_f32_e32 v30, v20, v12
	v_mul_f32_e32 v12, v13, v23
	v_fma_f32 v13, -v33, v34, 1.0
	v_fmac_f32_e32 v34, v13, v34
	v_div_scale_f32 v13, vcc, 1.0, v32, 1.0
	v_mul_f32_e32 v20, v13, v34
	v_fma_f32 v21, -v33, v20, v13
	v_fmac_f32_e32 v20, v21, v34
	v_fma_f32 v13, -v33, v20, v13
	v_mul_f32_e32 v30, v23, v30
	v_div_fmas_f32 v13, v13, v34, v20
	ds_read2st64_b64 v[20:23], v22 offset0:11 offset1:13
	v_div_fixup_f32 v13, v13, v32, 1.0
	s_waitcnt lgkmcnt(3)
	v_mul_f32_e32 v32, v9, v25
	v_mul_f32_e64 v9, v9, -v24
	v_fmac_f32_e32 v9, v25, v8
	v_fmac_f32_e32 v32, v24, v8
	v_mul_f32_e32 v34, v9, v13
	s_waitcnt lgkmcnt(0)
	v_pk_mul_f32 v[8:9], v[12:13], v[20:21] op_sel:[0,1] op_sel_hi:[0,0] neg_lo:[0,1]
	v_pk_fma_f32 v[8:9], v[20:21], v[30:31], v[8:9] op_sel_hi:[1,0,1]
	v_pk_add_f32 v[8:9], v[26:27], v[8:9] neg_lo:[0,1] neg_hi:[0,1]
	ds_read2st64_b64 v[24:27], v31 offset0:12 offset1:14
	v_mul_f32_e32 v32, v13, v32
	v_pk_mul_f32 v[20:21], v[34:35], v[6:7] op_sel:[0,1] op_sel_hi:[0,0] neg_lo:[0,1]
	v_pk_fma_f32 v[6:7], v[6:7], v[32:33], v[20:21] op_sel_hi:[1,0,1]
	v_pk_add_f32 v[6:7], v[8:9], v[6:7] neg_lo:[0,1] neg_hi:[0,1]
	v_pk_mul_f32 v[8:9], v[12:13], v[22:23] op_sel:[0,1] op_sel_hi:[0,0] neg_lo:[0,1]
	v_pk_fma_f32 v[8:9], v[22:23], v[30:31], v[8:9] op_sel_hi:[1,0,1]
	s_waitcnt lgkmcnt(0)
	v_pk_mul_f32 v[20:21], v[34:35], v[26:27] op_sel:[0,1] op_sel_hi:[0,0] neg_lo:[0,1]
	v_pk_mul_f32 v[12:13], v[12:13], v[10:11] op_sel:[0,1] op_sel_hi:[0,0] neg_hi:[0,1]
	v_pk_add_f32 v[8:9], v[28:29], v[8:9] neg_lo:[0,1] neg_hi:[0,1]
	v_pk_fma_f32 v[20:21], v[26:27], v[32:33], v[20:21] op_sel_hi:[1,0,1]
	v_pk_fma_f32 v[10:11], v[10:11], v[30:31], v[12:13] op_sel_hi:[1,0,1] neg_lo:[1,0,0] neg_hi:[1,0,0]
	v_pk_mul_f32 v[12:13], v[34:35], v[24:25] op_sel:[0,1] op_sel_hi:[0,0] neg_hi:[0,1]
	v_pk_add_f32 v[8:9], v[8:9], v[20:21] neg_lo:[0,1] neg_hi:[0,1]
	v_pk_fma_f32 v[12:13], v[24:25], v[32:33], v[12:13] op_sel_hi:[1,0,1] neg_lo:[1,0,0] neg_hi:[1,0,0]
.LBB48_14:
	s_or_b64 exec, exec, s[2:3]
	s_waitcnt lgkmcnt(0)
	; wave barrier
	s_and_saveexec_b64 s[2:3], s[0:1]
	s_cbranch_execz .LBB48_16
; %bb.15:
	ds_write_b64 v19, v[6:7]
	ds_write_b64 v16, v[8:9]
	;; [unrolled: 1-line block ×4, first 2 shown]
.LBB48_16:
	s_or_b64 exec, exec, s[2:3]
	s_waitcnt lgkmcnt(0)
	; wave barrier
	s_waitcnt lgkmcnt(0)
	s_and_saveexec_b64 s[2:3], s[0:1]
	s_cbranch_execz .LBB48_18
; %bb.17:
	v_max_u32_e32 v6, 8, v0
	v_lshlrev_b32_e32 v6, 3, v6
	v_add_u32_e32 v22, 0x1c0, v6
	ds_read2st64_b64 v[10:13], v22 offset0:9 offset1:10
	v_min_u32_e32 v6, 55, v0
	v_lshlrev_b32_e32 v6, 3, v6
	v_add_u32_e32 v31, 64, v6
	s_waitcnt lgkmcnt(0)
	v_mul_f32_e32 v7, v13, v13
	v_fmac_f32_e32 v7, v12, v12
	v_div_scale_f32 v8, s[4:5], v7, v7, 1.0
	v_rcp_f32_e32 v9, v8
	v_div_scale_f32 v6, vcc, 1.0, v7, 1.0
	v_fma_f32 v20, -v8, v9, 1.0
	v_fmac_f32_e32 v9, v20, v9
	v_mul_f32_e32 v20, v6, v9
	v_fma_f32 v21, -v8, v20, v6
	v_fmac_f32_e32 v20, v21, v9
	v_fma_f32 v6, -v8, v20, v6
	v_div_fmas_f32 v6, v6, v9, v20
	v_div_fixup_f32 v23, v6, v7, 1.0
	ds_read_b64 v[20:21], v17
	ds_read2st64_b64 v[6:9], v31 offset0:10 offset1:11
	ds_read_b64 v[24:25], v18
	ds_read_b64 v[26:27], v19
	;; [unrolled: 1-line block ×3, first 2 shown]
	s_waitcnt lgkmcnt(4)
	v_mul_f32_e32 v30, v13, v21
	s_waitcnt lgkmcnt(3)
	v_mul_f32_e32 v32, v9, v9
	v_fmac_f32_e32 v32, v8, v8
	v_div_scale_f32 v33, s[4:5], v32, v32, 1.0
	v_rcp_f32_e32 v34, v33
	v_mul_f32_e64 v13, v13, -v20
	v_fmac_f32_e32 v13, v21, v12
	v_fmac_f32_e32 v30, v20, v12
	v_mul_f32_e32 v12, v13, v23
	v_fma_f32 v13, -v33, v34, 1.0
	v_fmac_f32_e32 v34, v13, v34
	v_div_scale_f32 v13, vcc, 1.0, v32, 1.0
	v_mul_f32_e32 v20, v13, v34
	v_fma_f32 v21, -v33, v20, v13
	v_fmac_f32_e32 v20, v21, v34
	v_fma_f32 v13, -v33, v20, v13
	v_mul_f32_e32 v30, v23, v30
	v_div_fmas_f32 v13, v13, v34, v20
	ds_read2st64_b64 v[20:23], v22 offset0:11 offset1:13
	v_div_fixup_f32 v13, v13, v32, 1.0
	s_waitcnt lgkmcnt(3)
	v_mul_f32_e32 v32, v9, v25
	v_mul_f32_e64 v9, v9, -v24
	v_fmac_f32_e32 v9, v25, v8
	v_fmac_f32_e32 v32, v24, v8
	v_mul_f32_e32 v34, v9, v13
	s_waitcnt lgkmcnt(0)
	v_pk_mul_f32 v[8:9], v[12:13], v[20:21] op_sel:[0,1] op_sel_hi:[0,0] neg_lo:[0,1]
	v_pk_fma_f32 v[8:9], v[20:21], v[30:31], v[8:9] op_sel_hi:[1,0,1]
	v_pk_add_f32 v[8:9], v[26:27], v[8:9] neg_lo:[0,1] neg_hi:[0,1]
	ds_read2st64_b64 v[24:27], v31 offset0:12 offset1:14
	v_mul_f32_e32 v32, v13, v32
	v_pk_mul_f32 v[20:21], v[34:35], v[6:7] op_sel:[0,1] op_sel_hi:[0,0] neg_lo:[0,1]
	v_pk_fma_f32 v[6:7], v[6:7], v[32:33], v[20:21] op_sel_hi:[1,0,1]
	v_pk_add_f32 v[6:7], v[8:9], v[6:7] neg_lo:[0,1] neg_hi:[0,1]
	v_pk_mul_f32 v[8:9], v[12:13], v[22:23] op_sel:[0,1] op_sel_hi:[0,0] neg_lo:[0,1]
	v_pk_fma_f32 v[8:9], v[22:23], v[30:31], v[8:9] op_sel_hi:[1,0,1]
	s_waitcnt lgkmcnt(0)
	v_pk_mul_f32 v[20:21], v[34:35], v[26:27] op_sel:[0,1] op_sel_hi:[0,0] neg_lo:[0,1]
	v_pk_mul_f32 v[12:13], v[12:13], v[10:11] op_sel:[0,1] op_sel_hi:[0,0] neg_hi:[0,1]
	v_pk_add_f32 v[8:9], v[28:29], v[8:9] neg_lo:[0,1] neg_hi:[0,1]
	v_pk_fma_f32 v[20:21], v[26:27], v[32:33], v[20:21] op_sel_hi:[1,0,1]
	v_pk_fma_f32 v[10:11], v[10:11], v[30:31], v[12:13] op_sel_hi:[1,0,1] neg_lo:[1,0,0] neg_hi:[1,0,0]
	v_pk_mul_f32 v[12:13], v[34:35], v[24:25] op_sel:[0,1] op_sel_hi:[0,0] neg_hi:[0,1]
	v_pk_add_f32 v[8:9], v[8:9], v[20:21] neg_lo:[0,1] neg_hi:[0,1]
	v_pk_fma_f32 v[12:13], v[24:25], v[32:33], v[12:13] op_sel_hi:[1,0,1] neg_lo:[1,0,0] neg_hi:[1,0,0]
.LBB48_18:
	s_or_b64 exec, exec, s[2:3]
	s_waitcnt lgkmcnt(0)
	; wave barrier
	s_and_saveexec_b64 s[2:3], s[0:1]
	s_cbranch_execz .LBB48_20
; %bb.19:
	ds_write_b64 v19, v[6:7]
	ds_write_b64 v16, v[8:9]
	;; [unrolled: 1-line block ×4, first 2 shown]
.LBB48_20:
	s_or_b64 exec, exec, s[2:3]
	s_waitcnt lgkmcnt(0)
	; wave barrier
	s_waitcnt lgkmcnt(0)
	s_and_saveexec_b64 s[2:3], s[0:1]
	s_cbranch_execz .LBB48_22
; %bb.21:
	v_max_u32_e32 v6, 16, v0
	v_lshlrev_b32_e32 v6, 3, v6
	v_add_u32_e32 v22, 0x180, v6
	ds_read2st64_b64 v[10:13], v22 offset0:9 offset1:10
	v_min_u32_e32 v6, 47, v0
	v_lshlrev_b32_e32 v6, 3, v6
	v_add_u32_e32 v31, 0x80, v6
	s_waitcnt lgkmcnt(0)
	v_mul_f32_e32 v7, v13, v13
	v_fmac_f32_e32 v7, v12, v12
	v_div_scale_f32 v8, s[4:5], v7, v7, 1.0
	v_rcp_f32_e32 v9, v8
	v_div_scale_f32 v6, vcc, 1.0, v7, 1.0
	v_fma_f32 v20, -v8, v9, 1.0
	v_fmac_f32_e32 v9, v20, v9
	v_mul_f32_e32 v20, v6, v9
	v_fma_f32 v21, -v8, v20, v6
	v_fmac_f32_e32 v20, v21, v9
	v_fma_f32 v6, -v8, v20, v6
	v_div_fmas_f32 v6, v6, v9, v20
	v_div_fixup_f32 v23, v6, v7, 1.0
	ds_read_b64 v[20:21], v17
	ds_read2st64_b64 v[6:9], v31 offset0:10 offset1:11
	ds_read_b64 v[24:25], v18
	ds_read_b64 v[26:27], v19
	;; [unrolled: 1-line block ×3, first 2 shown]
	s_waitcnt lgkmcnt(4)
	v_mul_f32_e32 v30, v13, v21
	s_waitcnt lgkmcnt(3)
	v_mul_f32_e32 v32, v9, v9
	v_fmac_f32_e32 v32, v8, v8
	v_div_scale_f32 v33, s[4:5], v32, v32, 1.0
	v_rcp_f32_e32 v34, v33
	v_mul_f32_e64 v13, v13, -v20
	v_fmac_f32_e32 v13, v21, v12
	v_fmac_f32_e32 v30, v20, v12
	v_mul_f32_e32 v12, v13, v23
	v_fma_f32 v13, -v33, v34, 1.0
	v_fmac_f32_e32 v34, v13, v34
	v_div_scale_f32 v13, vcc, 1.0, v32, 1.0
	v_mul_f32_e32 v20, v13, v34
	v_fma_f32 v21, -v33, v20, v13
	v_fmac_f32_e32 v20, v21, v34
	v_fma_f32 v13, -v33, v20, v13
	v_mul_f32_e32 v30, v23, v30
	v_div_fmas_f32 v13, v13, v34, v20
	ds_read2st64_b64 v[20:23], v22 offset0:11 offset1:13
	v_div_fixup_f32 v13, v13, v32, 1.0
	s_waitcnt lgkmcnt(3)
	v_mul_f32_e32 v32, v9, v25
	v_mul_f32_e64 v9, v9, -v24
	v_fmac_f32_e32 v9, v25, v8
	v_fmac_f32_e32 v32, v24, v8
	v_mul_f32_e32 v34, v9, v13
	s_waitcnt lgkmcnt(0)
	v_pk_mul_f32 v[8:9], v[12:13], v[20:21] op_sel:[0,1] op_sel_hi:[0,0] neg_lo:[0,1]
	v_pk_fma_f32 v[8:9], v[20:21], v[30:31], v[8:9] op_sel_hi:[1,0,1]
	v_pk_add_f32 v[8:9], v[26:27], v[8:9] neg_lo:[0,1] neg_hi:[0,1]
	ds_read2st64_b64 v[24:27], v31 offset0:12 offset1:14
	v_mul_f32_e32 v32, v13, v32
	v_pk_mul_f32 v[20:21], v[34:35], v[6:7] op_sel:[0,1] op_sel_hi:[0,0] neg_lo:[0,1]
	v_pk_fma_f32 v[6:7], v[6:7], v[32:33], v[20:21] op_sel_hi:[1,0,1]
	v_pk_add_f32 v[6:7], v[8:9], v[6:7] neg_lo:[0,1] neg_hi:[0,1]
	v_pk_mul_f32 v[8:9], v[12:13], v[22:23] op_sel:[0,1] op_sel_hi:[0,0] neg_lo:[0,1]
	v_pk_fma_f32 v[8:9], v[22:23], v[30:31], v[8:9] op_sel_hi:[1,0,1]
	s_waitcnt lgkmcnt(0)
	v_pk_mul_f32 v[20:21], v[34:35], v[26:27] op_sel:[0,1] op_sel_hi:[0,0] neg_lo:[0,1]
	v_pk_mul_f32 v[12:13], v[12:13], v[10:11] op_sel:[0,1] op_sel_hi:[0,0] neg_hi:[0,1]
	v_pk_add_f32 v[8:9], v[28:29], v[8:9] neg_lo:[0,1] neg_hi:[0,1]
	v_pk_fma_f32 v[20:21], v[26:27], v[32:33], v[20:21] op_sel_hi:[1,0,1]
	v_pk_fma_f32 v[10:11], v[10:11], v[30:31], v[12:13] op_sel_hi:[1,0,1] neg_lo:[1,0,0] neg_hi:[1,0,0]
	v_pk_mul_f32 v[12:13], v[34:35], v[24:25] op_sel:[0,1] op_sel_hi:[0,0] neg_hi:[0,1]
	v_pk_add_f32 v[8:9], v[8:9], v[20:21] neg_lo:[0,1] neg_hi:[0,1]
	v_pk_fma_f32 v[12:13], v[24:25], v[32:33], v[12:13] op_sel_hi:[1,0,1] neg_lo:[1,0,0] neg_hi:[1,0,0]
.LBB48_22:
	s_or_b64 exec, exec, s[2:3]
	s_waitcnt lgkmcnt(0)
	; wave barrier
	s_and_saveexec_b64 s[2:3], s[0:1]
	s_cbranch_execz .LBB48_24
; %bb.23:
	ds_write_b64 v19, v[6:7]
	ds_write_b64 v16, v[8:9]
	;; [unrolled: 1-line block ×4, first 2 shown]
.LBB48_24:
	s_or_b64 exec, exec, s[2:3]
	v_cmp_gt_u32_e32 vcc, 32, v0
	s_waitcnt lgkmcnt(0)
	; wave barrier
	s_waitcnt lgkmcnt(0)
	s_and_saveexec_b64 s[2:3], vcc
	s_cbranch_execz .LBB48_26
; %bb.25:
	ds_read2_b64 v[6:9], v19 offset1:32
	ds_read_b64 v[18:19], v18
	ds_read_b64 v[20:21], v17 offset:256
	s_waitcnt lgkmcnt(2)
	v_pk_mul_f32 v[10:11], v[6:7], v[8:9] op_sel:[1,1] op_sel_hi:[1,0] neg_lo:[0,1]
	v_pk_fma_f32 v[10:11], v[8:9], v[6:7], v[10:11] op_sel_hi:[1,0,1]
	s_waitcnt lgkmcnt(0)
	v_pk_mul_f32 v[12:13], v[20:21], v[18:19] op_sel:[1,1] op_sel_hi:[1,0] neg_lo:[0,1]
	v_pk_fma_f32 v[12:13], v[18:19], v[20:21], v[12:13] op_sel_hi:[1,0,1]
	v_pk_add_f32 v[22:23], v[10:11], v[12:13] neg_lo:[0,1] neg_hi:[0,1]
	v_mul_f32_e32 v17, v23, v23
	v_fmac_f32_e32 v17, v22, v22
	v_div_scale_f32 v24, s[4:5], v17, v17, 1.0
	v_rcp_f32_e32 v25, v24
	ds_read2_b64 v[10:13], v16 offset1:32
	v_fma_f32 v16, -v24, v25, 1.0
	v_fmac_f32_e32 v25, v16, v25
	v_div_scale_f32 v16, vcc, 1.0, v17, 1.0
	v_mul_f32_e32 v26, v16, v25
	v_fma_f32 v27, -v24, v26, v16
	v_fmac_f32_e32 v26, v27, v25
	v_fma_f32 v16, -v24, v26, v16
	v_div_fmas_f32 v16, v16, v25, v26
	s_waitcnt lgkmcnt(0)
	v_pk_mul_f32 v[24:25], v[10:11], v[8:9] op_sel:[1,1] op_sel_hi:[1,0] neg_lo:[0,1]
	v_pk_fma_f32 v[8:9], v[8:9], v[10:11], v[24:25] op_sel_hi:[1,0,1]
	v_pk_mul_f32 v[24:25], v[12:13], v[18:19] op_sel:[1,1] op_sel_hi:[1,0] neg_lo:[0,1]
	v_div_fixup_f32 v17, v16, v17, 1.0
	v_fma_f32 v16, 0, v23, v22
	v_fma_f32 v22, v22, 0, -v23
	v_pk_fma_f32 v[18:19], v[18:19], v[12:13], v[24:25] op_sel_hi:[1,0,1]
	v_mul_f32_e32 v22, v22, v17
	v_pk_add_f32 v[8:9], v[8:9], v[18:19] neg_lo:[0,1] neg_hi:[0,1]
	v_mul_f32_e32 v16, v16, v17
	v_pk_mul_f32 v[18:19], v[22:23], v[8:9] op_sel:[0,1] op_sel_hi:[0,0] neg_lo:[0,1]
	v_pk_fma_f32 v[8:9], v[8:9], v[16:17], v[18:19] op_sel_hi:[1,0,1]
	v_pk_mul_f32 v[18:19], v[6:7], v[12:13] op_sel:[1,1] op_sel_hi:[1,0] neg_lo:[0,1]
	v_pk_fma_f32 v[6:7], v[12:13], v[6:7], v[18:19] op_sel_hi:[1,0,1]
	;; [unrolled: 2-line block ×3, first 2 shown]
	v_pk_add_f32 v[6:7], v[6:7], v[10:11] neg_lo:[0,1] neg_hi:[0,1]
	v_pk_mul_f32 v[10:11], v[22:23], v[6:7] op_sel:[0,1] op_sel_hi:[0,0] neg_lo:[0,1]
	v_pk_fma_f32 v[6:7], v[6:7], v[16:17], v[10:11] op_sel_hi:[1,0,1]
	v_add_u32_e32 v10, 0x1800, v14
	ds_write2_b64 v10, v[8:9], v[6:7] offset0:64 offset1:96
.LBB48_26:
	s_or_b64 exec, exec, s[2:3]
	s_waitcnt lgkmcnt(0)
	; wave barrier
	s_waitcnt lgkmcnt(0)
	s_and_saveexec_b64 s[2:3], s[0:1]
	s_cbranch_execz .LBB48_28
; %bb.27:
	ds_read_b64 v[6:7], v14 offset:6656
	s_waitcnt lgkmcnt(0)
	ds_write_b64 v15, v[6:7] offset:3080
.LBB48_28:
	s_or_b64 exec, exec, s[2:3]
	s_waitcnt lgkmcnt(0)
	; wave barrier
	s_waitcnt lgkmcnt(0)
	s_and_saveexec_b64 s[2:3], s[0:1]
	s_cbranch_execz .LBB48_34
; %bb.29:
	v_cmp_ne_u32_e32 vcc, 0, v0
	v_lshlrev_b32_e32 v6, 3, v1
                                        ; implicit-def: $vgpr0_vgpr1
	s_and_saveexec_b64 s[0:1], vcc
	s_xor_b64 s[0:1], exec, s[0:1]
	s_cbranch_execz .LBB48_31
; %bb.30:
	ds_read2st64_b64 v[8:11], v6 offset1:2
	v_add_u32_e32 v0, 0x800, v6
	ds_read2_b64 v[16:19], v0 offset1:127
	v_add_u32_e32 v1, 0xc00, v6
	ds_read2_b64 v[20:23], v1 offset0:1 offset1:128
	s_waitcnt lgkmcnt(2)
	v_mul_f32_e32 v0, v11, v11
	v_fmac_f32_e32 v0, v10, v10
	v_div_scale_f32 v7, s[4:5], v0, v0, 1.0
	v_rcp_f32_e32 v12, v7
	v_div_scale_f32 v1, vcc, 1.0, v0, 1.0
	v_fma_f32 v13, -v7, v12, 1.0
	v_fmac_f32_e32 v12, v13, v12
	v_mul_f32_e32 v13, v1, v12
	v_fma_f32 v15, -v7, v13, v1
	v_fmac_f32_e32 v13, v15, v12
	v_fma_f32 v1, -v7, v13, v1
	v_div_fmas_f32 v1, v1, v12, v13
	s_waitcnt lgkmcnt(1)
	v_pk_mul_f32 v[12:13], v[18:19], v[8:9] op_sel:[1,1] op_sel_hi:[1,0] neg_lo:[0,1]
	v_pk_fma_f32 v[8:9], v[8:9], v[18:19], v[12:13] op_sel_hi:[1,0,1]
	s_waitcnt lgkmcnt(0)
	v_pk_mul_f32 v[12:13], v[20:21], v[16:17] op_sel:[1,1] op_sel_hi:[1,0] neg_lo:[0,1]
	v_pk_add_f32 v[8:9], v[22:23], v[8:9] neg_lo:[0,1] neg_hi:[0,1]
	v_pk_fma_f32 v[12:13], v[16:17], v[20:21], v[12:13] op_sel_hi:[1,0,1]
	v_pk_add_f32 v[8:9], v[8:9], v[12:13] neg_lo:[0,1] neg_hi:[0,1]
	v_pk_mul_f32 v[12:13], v[10:11], v[8:9] op_sel:[1,1] op_sel_hi:[1,0] neg_hi:[0,1]
	v_div_fixup_f32 v0, v1, v0, 1.0
	v_pk_fma_f32 v[8:9], v[8:9], v[10:11], v[12:13] op_sel_hi:[1,0,1]
	v_pk_mul_f32 v[0:1], v[0:1], v[8:9] op_sel_hi:[0,1]
.LBB48_31:
	s_andn2_saveexec_b64 s[0:1], s[0:1]
	s_cbranch_execz .LBB48_33
; %bb.32:
	ds_read2st64_b64 v[8:11], v6 offset0:2 offset1:4
	v_add_u32_e32 v0, 0xc00, v6
	ds_read2_b64 v[16:19], v0 offset0:1 offset1:128
	s_waitcnt lgkmcnt(1)
	v_mul_f32_e32 v7, v9, v9
	v_fmac_f32_e32 v7, v8, v8
	v_div_scale_f32 v12, s[4:5], v7, v7, 1.0
	v_rcp_f32_e32 v13, v12
	v_div_scale_f32 v15, vcc, 1.0, v7, 1.0
	s_waitcnt lgkmcnt(0)
	v_pk_mul_f32 v[0:1], v[16:17], v[10:11] op_sel:[1,1] op_sel_hi:[1,0] neg_lo:[0,1]
	v_fma_f32 v20, -v12, v13, 1.0
	v_fmac_f32_e32 v13, v20, v13
	v_mul_f32_e32 v20, v15, v13
	v_fma_f32 v21, -v12, v20, v15
	v_fmac_f32_e32 v20, v21, v13
	v_pk_fma_f32 v[0:1], v[10:11], v[16:17], v[0:1] op_sel_hi:[1,0,1]
	v_fma_f32 v12, -v12, v20, v15
	v_pk_add_f32 v[0:1], v[18:19], v[0:1] neg_lo:[0,1] neg_hi:[0,1]
	v_div_fmas_f32 v12, v12, v13, v20
	v_pk_mul_f32 v[10:11], v[8:9], v[0:1] op_sel:[1,1] op_sel_hi:[1,0] neg_hi:[0,1]
	v_div_fixup_f32 v12, v12, v7, 1.0
	v_pk_fma_f32 v[0:1], v[0:1], v[8:9], v[10:11] op_sel_hi:[1,0,1]
	v_pk_mul_f32 v[0:1], v[12:13], v[0:1] op_sel_hi:[0,1]
.LBB48_33:
	s_or_b64 exec, exec, s[0:1]
	ds_write_b64 v6, v[0:1] offset:3072
.LBB48_34:
	s_or_b64 exec, exec, s[2:3]
	s_waitcnt lgkmcnt(0)
	; wave barrier
	s_waitcnt lgkmcnt(0)
	ds_read2st64_b64 v[6:9], v14 offset0:6 offset1:7
	s_waitcnt lgkmcnt(0)
	global_store_dwordx2 v[2:3], v[6:7], off
	global_store_dwordx2 v[4:5], v[8:9], off
	s_endpgm
	.section	.rodata,"a",@progbits
	.p2align	6, 0x0
	.amdhsa_kernel _ZN9rocsparseL51gtsv_nopivot_strided_batch_crpcr_pow2_shared_kernelILj64ELj64E21rocsparse_complex_numIfEEEviiiPKT1_S5_S5_PS3_
		.amdhsa_group_segment_fixed_size 7680
		.amdhsa_private_segment_fixed_size 0
		.amdhsa_kernarg_size 48
		.amdhsa_user_sgpr_count 6
		.amdhsa_user_sgpr_private_segment_buffer 1
		.amdhsa_user_sgpr_dispatch_ptr 0
		.amdhsa_user_sgpr_queue_ptr 0
		.amdhsa_user_sgpr_kernarg_segment_ptr 1
		.amdhsa_user_sgpr_dispatch_id 0
		.amdhsa_user_sgpr_flat_scratch_init 0
		.amdhsa_user_sgpr_kernarg_preload_length 0
		.amdhsa_user_sgpr_kernarg_preload_offset 0
		.amdhsa_user_sgpr_private_segment_size 0
		.amdhsa_uses_dynamic_stack 0
		.amdhsa_system_sgpr_private_segment_wavefront_offset 0
		.amdhsa_system_sgpr_workgroup_id_x 1
		.amdhsa_system_sgpr_workgroup_id_y 0
		.amdhsa_system_sgpr_workgroup_id_z 0
		.amdhsa_system_sgpr_workgroup_info 0
		.amdhsa_system_vgpr_workitem_id 0
		.amdhsa_next_free_vgpr 36
		.amdhsa_next_free_sgpr 16
		.amdhsa_accum_offset 36
		.amdhsa_reserve_vcc 1
		.amdhsa_reserve_flat_scratch 0
		.amdhsa_float_round_mode_32 0
		.amdhsa_float_round_mode_16_64 0
		.amdhsa_float_denorm_mode_32 3
		.amdhsa_float_denorm_mode_16_64 3
		.amdhsa_dx10_clamp 1
		.amdhsa_ieee_mode 1
		.amdhsa_fp16_overflow 0
		.amdhsa_tg_split 0
		.amdhsa_exception_fp_ieee_invalid_op 0
		.amdhsa_exception_fp_denorm_src 0
		.amdhsa_exception_fp_ieee_div_zero 0
		.amdhsa_exception_fp_ieee_overflow 0
		.amdhsa_exception_fp_ieee_underflow 0
		.amdhsa_exception_fp_ieee_inexact 0
		.amdhsa_exception_int_div_zero 0
	.end_amdhsa_kernel
	.section	.text._ZN9rocsparseL51gtsv_nopivot_strided_batch_crpcr_pow2_shared_kernelILj64ELj64E21rocsparse_complex_numIfEEEviiiPKT1_S5_S5_PS3_,"axG",@progbits,_ZN9rocsparseL51gtsv_nopivot_strided_batch_crpcr_pow2_shared_kernelILj64ELj64E21rocsparse_complex_numIfEEEviiiPKT1_S5_S5_PS3_,comdat
.Lfunc_end48:
	.size	_ZN9rocsparseL51gtsv_nopivot_strided_batch_crpcr_pow2_shared_kernelILj64ELj64E21rocsparse_complex_numIfEEEviiiPKT1_S5_S5_PS3_, .Lfunc_end48-_ZN9rocsparseL51gtsv_nopivot_strided_batch_crpcr_pow2_shared_kernelILj64ELj64E21rocsparse_complex_numIfEEEviiiPKT1_S5_S5_PS3_
                                        ; -- End function
	.section	.AMDGPU.csdata,"",@progbits
; Kernel info:
; codeLenInByte = 4380
; NumSgprs: 20
; NumVgprs: 36
; NumAgprs: 0
; TotalNumVgprs: 36
; ScratchSize: 0
; MemoryBound: 0
; FloatMode: 240
; IeeeMode: 1
; LDSByteSize: 7680 bytes/workgroup (compile time only)
; SGPRBlocks: 2
; VGPRBlocks: 4
; NumSGPRsForWavesPerEU: 20
; NumVGPRsForWavesPerEU: 36
; AccumOffset: 36
; Occupancy: 2
; WaveLimiterHint : 0
; COMPUTE_PGM_RSRC2:SCRATCH_EN: 0
; COMPUTE_PGM_RSRC2:USER_SGPR: 6
; COMPUTE_PGM_RSRC2:TRAP_HANDLER: 0
; COMPUTE_PGM_RSRC2:TGID_X_EN: 1
; COMPUTE_PGM_RSRC2:TGID_Y_EN: 0
; COMPUTE_PGM_RSRC2:TGID_Z_EN: 0
; COMPUTE_PGM_RSRC2:TIDIG_COMP_CNT: 0
; COMPUTE_PGM_RSRC3_GFX90A:ACCUM_OFFSET: 8
; COMPUTE_PGM_RSRC3_GFX90A:TG_SPLIT: 0
	.section	.text._ZN9rocsparseL51gtsv_nopivot_strided_batch_crpcr_pow2_shared_kernelILj128ELj64E21rocsparse_complex_numIfEEEviiiPKT1_S5_S5_PS3_,"axG",@progbits,_ZN9rocsparseL51gtsv_nopivot_strided_batch_crpcr_pow2_shared_kernelILj128ELj64E21rocsparse_complex_numIfEEEviiiPKT1_S5_S5_PS3_,comdat
	.globl	_ZN9rocsparseL51gtsv_nopivot_strided_batch_crpcr_pow2_shared_kernelILj128ELj64E21rocsparse_complex_numIfEEEviiiPKT1_S5_S5_PS3_ ; -- Begin function _ZN9rocsparseL51gtsv_nopivot_strided_batch_crpcr_pow2_shared_kernelILj128ELj64E21rocsparse_complex_numIfEEEviiiPKT1_S5_S5_PS3_
	.p2align	8
	.type	_ZN9rocsparseL51gtsv_nopivot_strided_batch_crpcr_pow2_shared_kernelILj128ELj64E21rocsparse_complex_numIfEEEviiiPKT1_S5_S5_PS3_,@function
_ZN9rocsparseL51gtsv_nopivot_strided_batch_crpcr_pow2_shared_kernelILj128ELj64E21rocsparse_complex_numIfEEEviiiPKT1_S5_S5_PS3_: ; @_ZN9rocsparseL51gtsv_nopivot_strided_batch_crpcr_pow2_shared_kernelILj128ELj64E21rocsparse_complex_numIfEEEviiiPKT1_S5_S5_PS3_
; %bb.0:
	s_load_dword s0, s[4:5], 0x8
	s_load_dwordx8 s[8:15], s[4:5], 0x10
	v_lshlrev_b32_e32 v14, 3, v0
	v_add_u32_e32 v19, 1, v0
	s_waitcnt lgkmcnt(0)
	s_mul_i32 s6, s6, s0
	v_add_u32_e32 v2, s6, v0
	v_ashrrev_i32_e32 v3, 31, v2
	v_lshlrev_b64 v[4:5], 3, v[2:3]
	v_mov_b32_e32 v1, s9
	v_add_co_u32_e32 v6, vcc, s8, v4
	v_add_u32_e32 v2, 0x80, v2
	v_mov_b32_e32 v3, 0
	v_addc_co_u32_e32 v7, vcc, v1, v5, vcc
	v_lshlrev_b64 v[8:9], 3, v[2:3]
	v_add_co_u32_e32 v2, vcc, s8, v8
	v_addc_co_u32_e32 v3, vcc, v1, v9, vcc
	global_load_dwordx2 v[10:11], v[6:7], off
	global_load_dwordx2 v[12:13], v[2:3], off
	v_mov_b32_e32 v1, s11
	v_add_co_u32_e32 v2, vcc, s10, v4
	v_addc_co_u32_e32 v3, vcc, v1, v5, vcc
	v_add_co_u32_e32 v6, vcc, s10, v8
	v_addc_co_u32_e32 v7, vcc, v1, v9, vcc
	global_load_dwordx2 v[16:17], v[2:3], off
	global_load_dwordx2 v[20:21], v[6:7], off
	v_mov_b32_e32 v1, s13
	v_add_co_u32_e32 v2, vcc, s12, v4
	v_addc_co_u32_e32 v3, vcc, v1, v5, vcc
	;; [unrolled: 7-line block ×3, first 2 shown]
	v_add_co_u32_e32 v4, vcc, s14, v8
	v_addc_co_u32_e32 v5, vcc, v1, v9, vcc
	global_load_dwordx2 v[6:7], v[2:3], off
	global_load_dwordx2 v[8:9], v[4:5], off
	s_movk_i32 s0, 0x80
	v_cmp_gt_u32_e64 s[0:1], s0, v0
	s_waitcnt vmcnt(6)
	ds_write2st64_b64 v14, v[10:11], v[12:13] offset1:2
	s_waitcnt vmcnt(4)
	ds_write2st64_b64 v14, v[16:17], v[20:21] offset0:4 offset1:6
	s_waitcnt vmcnt(2)
	ds_write2st64_b64 v14, v[22:23], v[24:25] offset0:8 offset1:10
	;; [unrolled: 2-line block ×3, first 2 shown]
	s_waitcnt lgkmcnt(0)
	s_barrier
	s_and_saveexec_b64 s[2:3], s[0:1]
	s_cbranch_execz .LBB49_2
; %bb.1:
	v_lshlrev_b32_e32 v1, 4, v19
	ds_read2_b64 v[6:9], v1 offset0:254 offset1:255
	ds_read_b128 v[10:13], v1 offset:4080
	v_lshlrev_b32_e32 v15, 1, v19
	v_min_u32_e32 v15, 0xff, v15
	v_add_u32_e32 v29, -8, v1
	s_waitcnt lgkmcnt(1)
	v_mul_f32_e32 v18, v7, v7
	v_fmac_f32_e32 v18, v6, v6
	v_div_scale_f32 v16, s[4:5], v18, v18, 1.0
	v_rcp_f32_e32 v17, v16
	v_lshlrev_b32_e32 v15, 3, v15
	v_add_u32_e32 v30, -16, v1
	v_fma_f32 v20, -v16, v17, 1.0
	v_fmac_f32_e32 v17, v20, v17
	v_div_scale_f32 v20, vcc, 1.0, v18, 1.0
	v_mul_f32_e32 v21, v20, v17
	v_fma_f32 v22, -v16, v21, v20
	v_fmac_f32_e32 v21, v22, v17
	v_fma_f32 v16, -v16, v21, v20
	v_div_fmas_f32 v20, v16, v17, v21
	ds_read_b64 v[16:17], v29
	v_div_fixup_f32 v28, v20, v18, 1.0
	ds_read2st64_b64 v[20:23], v15 offset1:4
	ds_read_b128 v[24:27], v1 offset:8176
	s_waitcnt lgkmcnt(2)
	v_mul_f32_e32 v18, v7, v17
	s_waitcnt lgkmcnt(1)
	v_mul_f32_e32 v31, v23, v23
	v_fmac_f32_e32 v31, v22, v22
	v_div_scale_f32 v32, s[4:5], v31, v31, 1.0
	v_rcp_f32_e32 v33, v32
	v_mul_f32_e64 v7, v7, -v16
	v_fmac_f32_e32 v18, v16, v6
	v_fmac_f32_e32 v7, v17, v6
	v_fma_f32 v6, -v32, v33, 1.0
	v_fmac_f32_e32 v33, v6, v33
	v_div_scale_f32 v6, vcc, 1.0, v31, 1.0
	v_mul_f32_e32 v16, v7, v28
	v_mul_f32_e32 v7, v6, v33
	v_fma_f32 v17, -v32, v7, v6
	v_fmac_f32_e32 v7, v17, v33
	v_fma_f32 v6, -v32, v7, v6
	v_div_fmas_f32 v6, v6, v33, v7
	v_mul_f32_e32 v7, v23, v13
	v_div_fixup_f32 v6, v6, v31, 1.0
	v_fmac_f32_e32 v7, v12, v22
	v_mul_f32_e32 v18, v28, v18
	v_mul_f32_e32 v28, v6, v7
	v_mul_f32_e64 v7, v23, -v12
	v_fmac_f32_e32 v7, v13, v22
	v_mul_f32_e32 v12, v7, v6
	v_pk_mul_f32 v[6:7], v[16:17], v[10:11] op_sel:[0,1] op_sel_hi:[0,0] neg_lo:[0,1]
	v_pk_fma_f32 v[6:7], v[10:11], v[18:19], v[6:7] op_sel_hi:[1,0,1]
	v_pk_add_f32 v[6:7], v[8:9], v[6:7] neg_lo:[0,1] neg_hi:[0,1]
	v_pk_mul_f32 v[8:9], v[12:13], v[20:21] op_sel:[0,1] op_sel_hi:[0,0] neg_lo:[0,1]
	v_pk_fma_f32 v[8:9], v[20:21], v[28:29], v[8:9] op_sel_hi:[1,0,1]
	v_pk_add_f32 v[10:11], v[6:7], v[8:9] neg_lo:[0,1] neg_hi:[0,1]
	ds_read2st64_b64 v[6:9], v15 offset0:8 offset1:16
	ds_read_b64 v[22:23], v30
	s_waitcnt lgkmcnt(2)
	v_pk_mul_f32 v[20:21], v[16:17], v[24:25] op_sel:[0,1] op_sel_hi:[0,0] neg_lo:[0,1]
	v_pk_fma_f32 v[20:21], v[24:25], v[18:19], v[20:21] op_sel_hi:[1,0,1]
	v_pk_add_f32 v[20:21], v[26:27], v[20:21] neg_lo:[0,1] neg_hi:[0,1]
	s_waitcnt lgkmcnt(1)
	v_pk_mul_f32 v[24:25], v[12:13], v[8:9] op_sel:[0,1] op_sel_hi:[0,0] neg_lo:[0,1]
	v_pk_fma_f32 v[8:9], v[8:9], v[28:29], v[24:25] op_sel_hi:[1,0,1]
	v_pk_add_f32 v[8:9], v[20:21], v[8:9] neg_lo:[0,1] neg_hi:[0,1]
	ds_write_b64 v1, v[8:9] offset:8184
	s_waitcnt lgkmcnt(1)
	v_pk_mul_f32 v[8:9], v[16:17], v[22:23] op_sel:[0,1] op_sel_hi:[0,0] neg_hi:[0,1]
	v_pk_fma_f32 v[8:9], v[22:23], v[18:19], v[8:9] op_sel_hi:[1,0,1] neg_lo:[1,0,0] neg_hi:[1,0,0]
	ds_write_b64 v29, v[8:9]
	v_pk_mul_f32 v[8:9], v[12:13], v[6:7] op_sel:[0,1] op_sel_hi:[0,0] neg_hi:[0,1]
	v_pk_fma_f32 v[6:7], v[6:7], v[28:29], v[8:9] op_sel_hi:[1,0,1] neg_lo:[1,0,0] neg_hi:[1,0,0]
	v_add_u32_e32 v1, 0x1f8, v1
	ds_write2st64_b64 v1, v[10:11], v[6:7] offset0:3 offset1:7
.LBB49_2:
	s_or_b64 exec, exec, s[2:3]
	v_cmp_gt_u32_e64 s[2:3], 64, v0
	v_lshlrev_b32_e32 v1, 5, v19
	s_waitcnt lgkmcnt(0)
	s_barrier
	s_and_saveexec_b64 s[4:5], s[2:3]
	s_cbranch_execz .LBB49_4
; %bb.3:
	ds_read2_b64 v[6:9], v1 offset0:253 offset1:255
	v_lshl_or_b32 v10, v19, 2, 1
	v_add_u32_e32 v15, -8, v1
	v_min_u32_e32 v10, 0xff, v10
	v_subrev_u32_e32 v11, 24, v1
	s_waitcnt lgkmcnt(0)
	v_mul_f32_e32 v12, v7, v7
	v_fmac_f32_e32 v12, v6, v6
	v_div_scale_f32 v13, s[6:7], v12, v12, 1.0
	v_rcp_f32_e32 v18, v13
	v_div_scale_f32 v16, vcc, 1.0, v12, 1.0
	v_lshlrev_b32_e32 v27, 3, v10
	v_fma_f32 v17, -v13, v18, 1.0
	v_fmac_f32_e32 v18, v17, v18
	v_mul_f32_e32 v20, v16, v18
	v_fma_f32 v17, -v13, v20, v16
	v_fmac_f32_e32 v20, v17, v18
	v_fma_f32 v13, -v13, v20, v16
	ds_read_b64 v[16:17], v15
	ds_read_b64 v[24:25], v11
	v_div_fmas_f32 v13, v13, v18, v20
	v_div_fixup_f32 v20, v13, v12, 1.0
	ds_read2st64_b64 v[10:13], v27 offset1:4
	s_waitcnt lgkmcnt(2)
	v_mul_f32_e32 v18, v7, v17
	v_mul_f32_e64 v7, v7, -v16
	v_fmac_f32_e32 v18, v16, v6
	v_fmac_f32_e32 v7, v17, v6
	s_waitcnt lgkmcnt(0)
	v_mul_f32_e32 v6, v13, v13
	v_fmac_f32_e32 v6, v12, v12
	v_div_scale_f32 v17, s[6:7], v6, v6, 1.0
	v_rcp_f32_e32 v26, v17
	v_mul_f32_e32 v16, v7, v20
	v_add_u32_e32 v7, 0x800, v1
	v_mul_f32_e32 v18, v20, v18
	ds_read2_b64 v[20:23], v7 offset0:253 offset1:255
	v_fma_f32 v7, -v17, v26, 1.0
	v_fmac_f32_e32 v26, v7, v26
	v_div_scale_f32 v7, vcc, 1.0, v6, 1.0
	v_mul_f32_e32 v28, v7, v26
	v_fma_f32 v29, -v17, v28, v7
	v_fmac_f32_e32 v28, v29, v26
	v_fma_f32 v7, -v17, v28, v7
	v_div_fmas_f32 v7, v7, v26, v28
	v_div_fixup_f32 v6, v7, v6, 1.0
	s_waitcnt lgkmcnt(0)
	v_mul_f32_e32 v7, v13, v23
	v_fmac_f32_e32 v7, v22, v12
	v_mul_f32_e32 v26, v6, v7
	v_mul_f32_e64 v7, v13, -v22
	v_fmac_f32_e32 v7, v23, v12
	v_mul_f32_e32 v22, v7, v6
	v_pk_mul_f32 v[6:7], v[16:17], v[20:21] op_sel:[0,1] op_sel_hi:[0,0] neg_lo:[0,1]
	v_pk_fma_f32 v[6:7], v[20:21], v[18:19], v[6:7] op_sel_hi:[1,0,1]
	v_pk_add_f32 v[20:21], v[8:9], v[6:7] neg_lo:[0,1] neg_hi:[0,1]
	v_add_u32_e32 v6, 0x1800, v1
	ds_read2_b64 v[6:9], v6 offset0:253 offset1:255
	v_pk_mul_f32 v[12:13], v[22:23], v[10:11] op_sel:[0,1] op_sel_hi:[0,0] neg_lo:[0,1]
	v_pk_fma_f32 v[28:29], v[10:11], v[26:27], v[12:13] op_sel_hi:[1,0,1]
	ds_read2st64_b64 v[10:13], v27 offset0:8 offset1:16
	v_pk_add_f32 v[20:21], v[20:21], v[28:29] neg_lo:[0,1] neg_hi:[0,1]
	s_waitcnt lgkmcnt(1)
	v_pk_mul_f32 v[28:29], v[16:17], v[6:7] op_sel:[0,1] op_sel_hi:[0,0] neg_lo:[0,1]
	v_pk_fma_f32 v[6:7], v[6:7], v[18:19], v[28:29] op_sel_hi:[1,0,1]
	v_pk_add_f32 v[6:7], v[8:9], v[6:7] neg_lo:[0,1] neg_hi:[0,1]
	s_waitcnt lgkmcnt(0)
	v_pk_mul_f32 v[8:9], v[22:23], v[12:13] op_sel:[0,1] op_sel_hi:[0,0] neg_lo:[0,1]
	v_pk_fma_f32 v[8:9], v[12:13], v[26:27], v[8:9] op_sel_hi:[1,0,1]
	v_pk_add_f32 v[6:7], v[6:7], v[8:9] neg_lo:[0,1] neg_hi:[0,1]
	ds_write_b64 v1, v[6:7] offset:8184
	v_pk_mul_f32 v[6:7], v[16:17], v[24:25] op_sel:[0,1] op_sel_hi:[0,0] neg_hi:[0,1]
	v_pk_fma_f32 v[6:7], v[24:25], v[18:19], v[6:7] op_sel_hi:[1,0,1] neg_lo:[1,0,0] neg_hi:[1,0,0]
	ds_write_b64 v15, v[6:7]
	v_pk_mul_f32 v[6:7], v[22:23], v[10:11] op_sel:[0,1] op_sel_hi:[0,0] neg_hi:[0,1]
	v_pk_fma_f32 v[6:7], v[10:11], v[26:27], v[6:7] op_sel_hi:[1,0,1] neg_lo:[1,0,0] neg_hi:[1,0,0]
	v_add_u32_e32 v8, 0x1f8, v1
	ds_write2st64_b64 v8, v[20:21], v[6:7] offset0:3 offset1:7
.LBB49_4:
	s_or_b64 exec, exec, s[4:5]
	s_waitcnt lgkmcnt(0)
	s_barrier
	s_and_saveexec_b64 s[4:5], s[2:3]
	s_cbranch_execz .LBB49_6
; %bb.5:
	v_add_u32_e32 v10, -8, v1
	v_add_u32_e32 v6, 0x1f8, v1
	ds_read2st64_b64 v[6:9], v6 offset0:3 offset1:7
	ds_read_b64 v[10:11], v10
	ds_read_b64 v[12:13], v1 offset:8184
	s_waitcnt lgkmcnt(1)
	ds_write2st64_b64 v14, v[10:11], v[6:7] offset0:20 offset1:21
	s_waitcnt lgkmcnt(1)
	ds_write2st64_b64 v14, v[8:9], v[12:13] offset0:22 offset1:24
.LBB49_6:
	s_or_b64 exec, exec, s[4:5]
	v_or_b32_e32 v16, 0x2800, v14
	v_or_b32_e32 v17, 0x2c00, v14
	v_add_u32_e32 v18, 0x2a00, v14
	v_or_b32_e32 v15, 0x3000, v14
	s_waitcnt lgkmcnt(0)
	s_barrier
	s_waitcnt lgkmcnt(0)
                                        ; implicit-def: $vgpr6_vgpr7
                                        ; implicit-def: $vgpr8_vgpr9
                                        ; implicit-def: $vgpr10_vgpr11
                                        ; implicit-def: $vgpr12_vgpr13
	s_and_saveexec_b64 s[4:5], s[2:3]
	s_cbranch_execz .LBB49_8
; %bb.7:
	v_max_u32_e32 v6, 1, v0
	v_lshlrev_b32_e32 v6, 3, v6
	v_add_u32_e32 v22, 0x1f8, v6
	ds_read2st64_b64 v[10:13], v22 offset0:19 offset1:20
	v_min_u32_e32 v6, 63, v19
	v_lshlrev_b32_e32 v19, 3, v6
	s_waitcnt lgkmcnt(0)
	v_mul_f32_e32 v7, v13, v13
	v_fmac_f32_e32 v7, v12, v12
	v_div_scale_f32 v8, s[6:7], v7, v7, 1.0
	v_rcp_f32_e32 v9, v8
	v_div_scale_f32 v6, vcc, 1.0, v7, 1.0
	v_fma_f32 v20, -v8, v9, 1.0
	v_fmac_f32_e32 v9, v20, v9
	v_mul_f32_e32 v20, v6, v9
	v_fma_f32 v21, -v8, v20, v6
	v_fmac_f32_e32 v20, v21, v9
	v_fma_f32 v6, -v8, v20, v6
	v_div_fmas_f32 v6, v6, v9, v20
	v_div_fixup_f32 v23, v6, v7, 1.0
	ds_read_b64 v[20:21], v16
	ds_read2st64_b64 v[6:9], v19 offset0:20 offset1:21
	ds_read_b64 v[24:25], v17
	ds_read_b64 v[26:27], v18
	;; [unrolled: 1-line block ×3, first 2 shown]
	s_waitcnt lgkmcnt(4)
	v_mul_f32_e32 v30, v13, v21
	s_waitcnt lgkmcnt(3)
	v_mul_f32_e32 v31, v9, v9
	v_fmac_f32_e32 v31, v8, v8
	v_div_scale_f32 v32, s[6:7], v31, v31, 1.0
	v_rcp_f32_e32 v33, v32
	v_mul_f32_e64 v13, v13, -v20
	v_fmac_f32_e32 v13, v21, v12
	v_fmac_f32_e32 v30, v20, v12
	v_mul_f32_e32 v12, v13, v23
	v_fma_f32 v13, -v32, v33, 1.0
	v_fmac_f32_e32 v33, v13, v33
	v_div_scale_f32 v13, vcc, 1.0, v31, 1.0
	v_mul_f32_e32 v20, v13, v33
	v_fma_f32 v21, -v32, v20, v13
	v_fmac_f32_e32 v20, v21, v33
	v_fma_f32 v13, -v32, v20, v13
	v_mul_f32_e32 v30, v23, v30
	v_div_fmas_f32 v13, v13, v33, v20
	ds_read2st64_b64 v[20:23], v22 offset0:21 offset1:23
	v_div_fixup_f32 v13, v13, v31, 1.0
	s_waitcnt lgkmcnt(3)
	v_mul_f32_e32 v31, v9, v25
	v_mul_f32_e64 v9, v9, -v24
	v_fmac_f32_e32 v9, v25, v8
	v_fmac_f32_e32 v31, v24, v8
	v_mul_f32_e32 v34, v9, v13
	s_waitcnt lgkmcnt(0)
	v_pk_mul_f32 v[8:9], v[12:13], v[20:21] op_sel:[0,1] op_sel_hi:[0,0] neg_lo:[0,1]
	v_pk_fma_f32 v[8:9], v[20:21], v[30:31], v[8:9] op_sel_hi:[1,0,1]
	v_pk_add_f32 v[8:9], v[26:27], v[8:9] neg_lo:[0,1] neg_hi:[0,1]
	ds_read2st64_b64 v[24:27], v19 offset0:22 offset1:24
	v_mul_f32_e32 v32, v13, v31
	v_pk_mul_f32 v[20:21], v[34:35], v[6:7] op_sel:[0,1] op_sel_hi:[0,0] neg_lo:[0,1]
	v_pk_fma_f32 v[6:7], v[6:7], v[32:33], v[20:21] op_sel_hi:[1,0,1]
	v_pk_add_f32 v[6:7], v[8:9], v[6:7] neg_lo:[0,1] neg_hi:[0,1]
	v_pk_mul_f32 v[8:9], v[12:13], v[22:23] op_sel:[0,1] op_sel_hi:[0,0] neg_lo:[0,1]
	v_pk_fma_f32 v[8:9], v[22:23], v[30:31], v[8:9] op_sel_hi:[1,0,1]
	s_waitcnt lgkmcnt(0)
	v_pk_mul_f32 v[20:21], v[34:35], v[26:27] op_sel:[0,1] op_sel_hi:[0,0] neg_lo:[0,1]
	v_pk_mul_f32 v[12:13], v[12:13], v[10:11] op_sel:[0,1] op_sel_hi:[0,0] neg_hi:[0,1]
	v_pk_add_f32 v[8:9], v[28:29], v[8:9] neg_lo:[0,1] neg_hi:[0,1]
	v_pk_fma_f32 v[20:21], v[26:27], v[32:33], v[20:21] op_sel_hi:[1,0,1]
	v_pk_fma_f32 v[10:11], v[10:11], v[30:31], v[12:13] op_sel_hi:[1,0,1] neg_lo:[1,0,0] neg_hi:[1,0,0]
	v_pk_mul_f32 v[12:13], v[34:35], v[24:25] op_sel:[0,1] op_sel_hi:[0,0] neg_hi:[0,1]
	v_pk_add_f32 v[8:9], v[8:9], v[20:21] neg_lo:[0,1] neg_hi:[0,1]
	v_pk_fma_f32 v[12:13], v[24:25], v[32:33], v[12:13] op_sel_hi:[1,0,1] neg_lo:[1,0,0] neg_hi:[1,0,0]
.LBB49_8:
	s_or_b64 exec, exec, s[4:5]
	s_barrier
	s_and_saveexec_b64 s[4:5], s[2:3]
	s_cbranch_execz .LBB49_10
; %bb.9:
	ds_write_b64 v18, v[6:7]
	ds_write_b64 v15, v[8:9]
	ds_write_b64 v16, v[10:11]
	ds_write_b64 v17, v[12:13]
.LBB49_10:
	s_or_b64 exec, exec, s[4:5]
	s_waitcnt lgkmcnt(0)
	s_barrier
	s_and_saveexec_b64 s[4:5], s[2:3]
	s_cbranch_execz .LBB49_12
; %bb.11:
	v_max_u32_e32 v6, 2, v0
	v_lshlrev_b32_e32 v6, 3, v6
	v_add_u32_e32 v19, 0x1f0, v6
	ds_read2st64_b64 v[10:13], v19 offset0:19 offset1:20
	v_min_u32_e32 v6, 61, v0
	v_lshlrev_b32_e32 v6, 3, v6
	v_add_u32_e32 v31, 16, v6
	s_waitcnt lgkmcnt(0)
	v_mul_f32_e32 v7, v13, v13
	v_fmac_f32_e32 v7, v12, v12
	v_div_scale_f32 v8, s[6:7], v7, v7, 1.0
	v_rcp_f32_e32 v9, v8
	v_div_scale_f32 v6, vcc, 1.0, v7, 1.0
	v_fma_f32 v20, -v8, v9, 1.0
	v_fmac_f32_e32 v9, v20, v9
	v_mul_f32_e32 v20, v6, v9
	v_fma_f32 v21, -v8, v20, v6
	v_fmac_f32_e32 v20, v21, v9
	v_fma_f32 v6, -v8, v20, v6
	v_div_fmas_f32 v6, v6, v9, v20
	v_div_fixup_f32 v22, v6, v7, 1.0
	ds_read_b64 v[20:21], v16
	ds_read2st64_b64 v[6:9], v31 offset0:20 offset1:21
	ds_read_b64 v[24:25], v17
	ds_read_b64 v[26:27], v18
	;; [unrolled: 1-line block ×3, first 2 shown]
	s_waitcnt lgkmcnt(4)
	v_mul_f32_e32 v23, v13, v21
	v_fmac_f32_e32 v23, v20, v12
	v_mul_f32_e32 v30, v22, v23
	s_waitcnt lgkmcnt(3)
	v_mul_f32_e32 v23, v9, v9
	v_fmac_f32_e32 v23, v8, v8
	v_div_scale_f32 v32, s[6:7], v23, v23, 1.0
	v_rcp_f32_e32 v33, v32
	v_mul_f32_e64 v13, v13, -v20
	v_fmac_f32_e32 v13, v21, v12
	v_mul_f32_e32 v12, v13, v22
	v_fma_f32 v13, -v32, v33, 1.0
	v_fmac_f32_e32 v33, v13, v33
	v_div_scale_f32 v13, vcc, 1.0, v23, 1.0
	v_mul_f32_e32 v20, v13, v33
	v_fma_f32 v21, -v32, v20, v13
	v_fmac_f32_e32 v20, v21, v33
	v_fma_f32 v13, -v32, v20, v13
	v_div_fmas_f32 v13, v13, v33, v20
	v_div_fixup_f32 v13, v13, v23, 1.0
	ds_read2st64_b64 v[20:23], v19 offset0:21 offset1:23
	s_waitcnt lgkmcnt(3)
	v_mul_f32_e32 v32, v9, v25
	v_mul_f32_e64 v9, v9, -v24
	v_fmac_f32_e32 v9, v25, v8
	v_fmac_f32_e32 v32, v24, v8
	v_mul_f32_e32 v34, v9, v13
	s_waitcnt lgkmcnt(0)
	v_pk_mul_f32 v[8:9], v[12:13], v[20:21] op_sel:[0,1] op_sel_hi:[0,0] neg_lo:[0,1]
	v_pk_fma_f32 v[8:9], v[20:21], v[30:31], v[8:9] op_sel_hi:[1,0,1]
	v_pk_add_f32 v[8:9], v[26:27], v[8:9] neg_lo:[0,1] neg_hi:[0,1]
	ds_read2st64_b64 v[24:27], v31 offset0:22 offset1:24
	v_mul_f32_e32 v32, v13, v32
	v_pk_mul_f32 v[20:21], v[34:35], v[6:7] op_sel:[0,1] op_sel_hi:[0,0] neg_lo:[0,1]
	v_pk_fma_f32 v[6:7], v[6:7], v[32:33], v[20:21] op_sel_hi:[1,0,1]
	v_pk_add_f32 v[6:7], v[8:9], v[6:7] neg_lo:[0,1] neg_hi:[0,1]
	v_pk_mul_f32 v[8:9], v[12:13], v[22:23] op_sel:[0,1] op_sel_hi:[0,0] neg_lo:[0,1]
	v_pk_fma_f32 v[8:9], v[22:23], v[30:31], v[8:9] op_sel_hi:[1,0,1]
	s_waitcnt lgkmcnt(0)
	v_pk_mul_f32 v[20:21], v[34:35], v[26:27] op_sel:[0,1] op_sel_hi:[0,0] neg_lo:[0,1]
	v_pk_mul_f32 v[12:13], v[12:13], v[10:11] op_sel:[0,1] op_sel_hi:[0,0] neg_hi:[0,1]
	v_pk_add_f32 v[8:9], v[28:29], v[8:9] neg_lo:[0,1] neg_hi:[0,1]
	v_pk_fma_f32 v[20:21], v[26:27], v[32:33], v[20:21] op_sel_hi:[1,0,1]
	v_pk_fma_f32 v[10:11], v[10:11], v[30:31], v[12:13] op_sel_hi:[1,0,1] neg_lo:[1,0,0] neg_hi:[1,0,0]
	v_pk_mul_f32 v[12:13], v[34:35], v[24:25] op_sel:[0,1] op_sel_hi:[0,0] neg_hi:[0,1]
	v_pk_add_f32 v[8:9], v[8:9], v[20:21] neg_lo:[0,1] neg_hi:[0,1]
	v_pk_fma_f32 v[12:13], v[24:25], v[32:33], v[12:13] op_sel_hi:[1,0,1] neg_lo:[1,0,0] neg_hi:[1,0,0]
.LBB49_12:
	s_or_b64 exec, exec, s[4:5]
	s_barrier
	s_and_saveexec_b64 s[4:5], s[2:3]
	s_cbranch_execz .LBB49_14
; %bb.13:
	ds_write_b64 v18, v[6:7]
	ds_write_b64 v15, v[8:9]
	;; [unrolled: 1-line block ×4, first 2 shown]
.LBB49_14:
	s_or_b64 exec, exec, s[4:5]
	s_waitcnt lgkmcnt(0)
	s_barrier
	s_and_saveexec_b64 s[4:5], s[2:3]
	s_cbranch_execz .LBB49_16
; %bb.15:
	v_max_u32_e32 v6, 4, v0
	v_lshlrev_b32_e32 v6, 3, v6
	v_add_u32_e32 v19, 0x1e0, v6
	ds_read2st64_b64 v[10:13], v19 offset0:19 offset1:20
	v_min_u32_e32 v6, 59, v0
	v_lshlrev_b32_e32 v6, 3, v6
	v_add_u32_e32 v31, 32, v6
	s_waitcnt lgkmcnt(0)
	v_mul_f32_e32 v7, v13, v13
	v_fmac_f32_e32 v7, v12, v12
	v_div_scale_f32 v8, s[6:7], v7, v7, 1.0
	v_rcp_f32_e32 v9, v8
	v_div_scale_f32 v6, vcc, 1.0, v7, 1.0
	v_fma_f32 v20, -v8, v9, 1.0
	v_fmac_f32_e32 v9, v20, v9
	v_mul_f32_e32 v20, v6, v9
	v_fma_f32 v21, -v8, v20, v6
	v_fmac_f32_e32 v20, v21, v9
	v_fma_f32 v6, -v8, v20, v6
	v_div_fmas_f32 v6, v6, v9, v20
	v_div_fixup_f32 v22, v6, v7, 1.0
	ds_read_b64 v[20:21], v16
	ds_read2st64_b64 v[6:9], v31 offset0:20 offset1:21
	ds_read_b64 v[24:25], v17
	ds_read_b64 v[26:27], v18
	;; [unrolled: 1-line block ×3, first 2 shown]
	s_waitcnt lgkmcnt(4)
	v_mul_f32_e32 v23, v13, v21
	v_fmac_f32_e32 v23, v20, v12
	v_mul_f32_e32 v30, v22, v23
	s_waitcnt lgkmcnt(3)
	v_mul_f32_e32 v23, v9, v9
	v_fmac_f32_e32 v23, v8, v8
	v_div_scale_f32 v32, s[6:7], v23, v23, 1.0
	v_rcp_f32_e32 v33, v32
	v_mul_f32_e64 v13, v13, -v20
	v_fmac_f32_e32 v13, v21, v12
	v_mul_f32_e32 v12, v13, v22
	v_fma_f32 v13, -v32, v33, 1.0
	v_fmac_f32_e32 v33, v13, v33
	v_div_scale_f32 v13, vcc, 1.0, v23, 1.0
	v_mul_f32_e32 v20, v13, v33
	v_fma_f32 v21, -v32, v20, v13
	v_fmac_f32_e32 v20, v21, v33
	v_fma_f32 v13, -v32, v20, v13
	v_div_fmas_f32 v13, v13, v33, v20
	v_div_fixup_f32 v13, v13, v23, 1.0
	ds_read2st64_b64 v[20:23], v19 offset0:21 offset1:23
	s_waitcnt lgkmcnt(3)
	v_mul_f32_e32 v32, v9, v25
	v_mul_f32_e64 v9, v9, -v24
	v_fmac_f32_e32 v9, v25, v8
	v_fmac_f32_e32 v32, v24, v8
	v_mul_f32_e32 v34, v9, v13
	s_waitcnt lgkmcnt(0)
	v_pk_mul_f32 v[8:9], v[12:13], v[20:21] op_sel:[0,1] op_sel_hi:[0,0] neg_lo:[0,1]
	v_pk_fma_f32 v[8:9], v[20:21], v[30:31], v[8:9] op_sel_hi:[1,0,1]
	v_pk_add_f32 v[8:9], v[26:27], v[8:9] neg_lo:[0,1] neg_hi:[0,1]
	ds_read2st64_b64 v[24:27], v31 offset0:22 offset1:24
	v_mul_f32_e32 v32, v13, v32
	v_pk_mul_f32 v[20:21], v[34:35], v[6:7] op_sel:[0,1] op_sel_hi:[0,0] neg_lo:[0,1]
	v_pk_fma_f32 v[6:7], v[6:7], v[32:33], v[20:21] op_sel_hi:[1,0,1]
	v_pk_add_f32 v[6:7], v[8:9], v[6:7] neg_lo:[0,1] neg_hi:[0,1]
	v_pk_mul_f32 v[8:9], v[12:13], v[22:23] op_sel:[0,1] op_sel_hi:[0,0] neg_lo:[0,1]
	v_pk_fma_f32 v[8:9], v[22:23], v[30:31], v[8:9] op_sel_hi:[1,0,1]
	s_waitcnt lgkmcnt(0)
	v_pk_mul_f32 v[20:21], v[34:35], v[26:27] op_sel:[0,1] op_sel_hi:[0,0] neg_lo:[0,1]
	v_pk_mul_f32 v[12:13], v[12:13], v[10:11] op_sel:[0,1] op_sel_hi:[0,0] neg_hi:[0,1]
	v_pk_add_f32 v[8:9], v[28:29], v[8:9] neg_lo:[0,1] neg_hi:[0,1]
	v_pk_fma_f32 v[20:21], v[26:27], v[32:33], v[20:21] op_sel_hi:[1,0,1]
	v_pk_fma_f32 v[10:11], v[10:11], v[30:31], v[12:13] op_sel_hi:[1,0,1] neg_lo:[1,0,0] neg_hi:[1,0,0]
	v_pk_mul_f32 v[12:13], v[34:35], v[24:25] op_sel:[0,1] op_sel_hi:[0,0] neg_hi:[0,1]
	v_pk_add_f32 v[8:9], v[8:9], v[20:21] neg_lo:[0,1] neg_hi:[0,1]
	v_pk_fma_f32 v[12:13], v[24:25], v[32:33], v[12:13] op_sel_hi:[1,0,1] neg_lo:[1,0,0] neg_hi:[1,0,0]
.LBB49_16:
	s_or_b64 exec, exec, s[4:5]
	s_barrier
	s_and_saveexec_b64 s[4:5], s[2:3]
	s_cbranch_execz .LBB49_18
; %bb.17:
	ds_write_b64 v18, v[6:7]
	ds_write_b64 v15, v[8:9]
	;; [unrolled: 1-line block ×4, first 2 shown]
.LBB49_18:
	s_or_b64 exec, exec, s[4:5]
	s_waitcnt lgkmcnt(0)
	s_barrier
	s_and_saveexec_b64 s[4:5], s[2:3]
	s_cbranch_execz .LBB49_20
; %bb.19:
	v_max_u32_e32 v6, 8, v0
	v_lshlrev_b32_e32 v6, 3, v6
	v_add_u32_e32 v19, 0x1c0, v6
	ds_read2st64_b64 v[10:13], v19 offset0:19 offset1:20
	v_min_u32_e32 v6, 55, v0
	v_lshlrev_b32_e32 v6, 3, v6
	v_add_u32_e32 v31, 64, v6
	s_waitcnt lgkmcnt(0)
	v_mul_f32_e32 v7, v13, v13
	v_fmac_f32_e32 v7, v12, v12
	v_div_scale_f32 v8, s[6:7], v7, v7, 1.0
	v_rcp_f32_e32 v9, v8
	v_div_scale_f32 v6, vcc, 1.0, v7, 1.0
	v_fma_f32 v20, -v8, v9, 1.0
	v_fmac_f32_e32 v9, v20, v9
	v_mul_f32_e32 v20, v6, v9
	v_fma_f32 v21, -v8, v20, v6
	v_fmac_f32_e32 v20, v21, v9
	v_fma_f32 v6, -v8, v20, v6
	v_div_fmas_f32 v6, v6, v9, v20
	v_div_fixup_f32 v22, v6, v7, 1.0
	ds_read_b64 v[20:21], v16
	ds_read2st64_b64 v[6:9], v31 offset0:20 offset1:21
	ds_read_b64 v[24:25], v17
	ds_read_b64 v[26:27], v18
	;; [unrolled: 1-line block ×3, first 2 shown]
	s_waitcnt lgkmcnt(4)
	v_mul_f32_e32 v23, v13, v21
	v_fmac_f32_e32 v23, v20, v12
	v_mul_f32_e32 v30, v22, v23
	s_waitcnt lgkmcnt(3)
	v_mul_f32_e32 v23, v9, v9
	v_fmac_f32_e32 v23, v8, v8
	v_div_scale_f32 v32, s[6:7], v23, v23, 1.0
	v_rcp_f32_e32 v33, v32
	v_mul_f32_e64 v13, v13, -v20
	v_fmac_f32_e32 v13, v21, v12
	v_mul_f32_e32 v12, v13, v22
	v_fma_f32 v13, -v32, v33, 1.0
	v_fmac_f32_e32 v33, v13, v33
	v_div_scale_f32 v13, vcc, 1.0, v23, 1.0
	v_mul_f32_e32 v20, v13, v33
	v_fma_f32 v21, -v32, v20, v13
	v_fmac_f32_e32 v20, v21, v33
	v_fma_f32 v13, -v32, v20, v13
	v_div_fmas_f32 v13, v13, v33, v20
	v_div_fixup_f32 v13, v13, v23, 1.0
	ds_read2st64_b64 v[20:23], v19 offset0:21 offset1:23
	s_waitcnt lgkmcnt(3)
	v_mul_f32_e32 v32, v9, v25
	v_mul_f32_e64 v9, v9, -v24
	v_fmac_f32_e32 v9, v25, v8
	v_fmac_f32_e32 v32, v24, v8
	v_mul_f32_e32 v34, v9, v13
	s_waitcnt lgkmcnt(0)
	v_pk_mul_f32 v[8:9], v[12:13], v[20:21] op_sel:[0,1] op_sel_hi:[0,0] neg_lo:[0,1]
	v_pk_fma_f32 v[8:9], v[20:21], v[30:31], v[8:9] op_sel_hi:[1,0,1]
	v_pk_add_f32 v[8:9], v[26:27], v[8:9] neg_lo:[0,1] neg_hi:[0,1]
	ds_read2st64_b64 v[24:27], v31 offset0:22 offset1:24
	v_mul_f32_e32 v32, v13, v32
	v_pk_mul_f32 v[20:21], v[34:35], v[6:7] op_sel:[0,1] op_sel_hi:[0,0] neg_lo:[0,1]
	v_pk_fma_f32 v[6:7], v[6:7], v[32:33], v[20:21] op_sel_hi:[1,0,1]
	v_pk_add_f32 v[6:7], v[8:9], v[6:7] neg_lo:[0,1] neg_hi:[0,1]
	v_pk_mul_f32 v[8:9], v[12:13], v[22:23] op_sel:[0,1] op_sel_hi:[0,0] neg_lo:[0,1]
	v_pk_fma_f32 v[8:9], v[22:23], v[30:31], v[8:9] op_sel_hi:[1,0,1]
	s_waitcnt lgkmcnt(0)
	v_pk_mul_f32 v[20:21], v[34:35], v[26:27] op_sel:[0,1] op_sel_hi:[0,0] neg_lo:[0,1]
	v_pk_mul_f32 v[12:13], v[12:13], v[10:11] op_sel:[0,1] op_sel_hi:[0,0] neg_hi:[0,1]
	v_pk_add_f32 v[8:9], v[28:29], v[8:9] neg_lo:[0,1] neg_hi:[0,1]
	v_pk_fma_f32 v[20:21], v[26:27], v[32:33], v[20:21] op_sel_hi:[1,0,1]
	v_pk_fma_f32 v[10:11], v[10:11], v[30:31], v[12:13] op_sel_hi:[1,0,1] neg_lo:[1,0,0] neg_hi:[1,0,0]
	v_pk_mul_f32 v[12:13], v[34:35], v[24:25] op_sel:[0,1] op_sel_hi:[0,0] neg_hi:[0,1]
	v_pk_add_f32 v[8:9], v[8:9], v[20:21] neg_lo:[0,1] neg_hi:[0,1]
	v_pk_fma_f32 v[12:13], v[24:25], v[32:33], v[12:13] op_sel_hi:[1,0,1] neg_lo:[1,0,0] neg_hi:[1,0,0]
.LBB49_20:
	s_or_b64 exec, exec, s[4:5]
	s_barrier
	s_and_saveexec_b64 s[4:5], s[2:3]
	s_cbranch_execz .LBB49_22
; %bb.21:
	ds_write_b64 v18, v[6:7]
	ds_write_b64 v15, v[8:9]
	ds_write_b64 v16, v[10:11]
	ds_write_b64 v17, v[12:13]
.LBB49_22:
	s_or_b64 exec, exec, s[4:5]
	s_waitcnt lgkmcnt(0)
	s_barrier
	s_and_saveexec_b64 s[4:5], s[2:3]
	s_cbranch_execz .LBB49_24
; %bb.23:
	v_max_u32_e32 v6, 16, v0
	v_lshlrev_b32_e32 v6, 3, v6
	v_add_u32_e32 v19, 0x180, v6
	ds_read2st64_b64 v[10:13], v19 offset0:19 offset1:20
	v_min_u32_e32 v6, 47, v0
	v_lshlrev_b32_e32 v6, 3, v6
	v_add_u32_e32 v31, 0x80, v6
	s_waitcnt lgkmcnt(0)
	v_mul_f32_e32 v7, v13, v13
	v_fmac_f32_e32 v7, v12, v12
	v_div_scale_f32 v8, s[6:7], v7, v7, 1.0
	v_rcp_f32_e32 v9, v8
	v_div_scale_f32 v6, vcc, 1.0, v7, 1.0
	v_fma_f32 v20, -v8, v9, 1.0
	v_fmac_f32_e32 v9, v20, v9
	v_mul_f32_e32 v20, v6, v9
	v_fma_f32 v21, -v8, v20, v6
	v_fmac_f32_e32 v20, v21, v9
	v_fma_f32 v6, -v8, v20, v6
	v_div_fmas_f32 v6, v6, v9, v20
	v_div_fixup_f32 v22, v6, v7, 1.0
	ds_read_b64 v[20:21], v16
	ds_read2st64_b64 v[6:9], v31 offset0:20 offset1:21
	ds_read_b64 v[24:25], v17
	ds_read_b64 v[26:27], v18
	;; [unrolled: 1-line block ×3, first 2 shown]
	s_waitcnt lgkmcnt(4)
	v_mul_f32_e32 v23, v13, v21
	v_fmac_f32_e32 v23, v20, v12
	v_mul_f32_e32 v30, v22, v23
	s_waitcnt lgkmcnt(3)
	v_mul_f32_e32 v23, v9, v9
	v_fmac_f32_e32 v23, v8, v8
	v_div_scale_f32 v32, s[6:7], v23, v23, 1.0
	v_rcp_f32_e32 v33, v32
	v_mul_f32_e64 v13, v13, -v20
	v_fmac_f32_e32 v13, v21, v12
	v_mul_f32_e32 v12, v13, v22
	v_fma_f32 v13, -v32, v33, 1.0
	v_fmac_f32_e32 v33, v13, v33
	v_div_scale_f32 v13, vcc, 1.0, v23, 1.0
	v_mul_f32_e32 v20, v13, v33
	v_fma_f32 v21, -v32, v20, v13
	v_fmac_f32_e32 v20, v21, v33
	v_fma_f32 v13, -v32, v20, v13
	v_div_fmas_f32 v13, v13, v33, v20
	v_div_fixup_f32 v13, v13, v23, 1.0
	ds_read2st64_b64 v[20:23], v19 offset0:21 offset1:23
	s_waitcnt lgkmcnt(3)
	v_mul_f32_e32 v32, v9, v25
	v_mul_f32_e64 v9, v9, -v24
	v_fmac_f32_e32 v9, v25, v8
	v_fmac_f32_e32 v32, v24, v8
	v_mul_f32_e32 v34, v9, v13
	s_waitcnt lgkmcnt(0)
	v_pk_mul_f32 v[8:9], v[12:13], v[20:21] op_sel:[0,1] op_sel_hi:[0,0] neg_lo:[0,1]
	v_pk_fma_f32 v[8:9], v[20:21], v[30:31], v[8:9] op_sel_hi:[1,0,1]
	v_pk_add_f32 v[8:9], v[26:27], v[8:9] neg_lo:[0,1] neg_hi:[0,1]
	ds_read2st64_b64 v[24:27], v31 offset0:22 offset1:24
	v_mul_f32_e32 v32, v13, v32
	v_pk_mul_f32 v[20:21], v[34:35], v[6:7] op_sel:[0,1] op_sel_hi:[0,0] neg_lo:[0,1]
	v_pk_fma_f32 v[6:7], v[6:7], v[32:33], v[20:21] op_sel_hi:[1,0,1]
	v_pk_add_f32 v[6:7], v[8:9], v[6:7] neg_lo:[0,1] neg_hi:[0,1]
	v_pk_mul_f32 v[8:9], v[12:13], v[22:23] op_sel:[0,1] op_sel_hi:[0,0] neg_lo:[0,1]
	v_pk_fma_f32 v[8:9], v[22:23], v[30:31], v[8:9] op_sel_hi:[1,0,1]
	s_waitcnt lgkmcnt(0)
	v_pk_mul_f32 v[20:21], v[34:35], v[26:27] op_sel:[0,1] op_sel_hi:[0,0] neg_lo:[0,1]
	v_pk_mul_f32 v[12:13], v[12:13], v[10:11] op_sel:[0,1] op_sel_hi:[0,0] neg_hi:[0,1]
	v_pk_add_f32 v[8:9], v[28:29], v[8:9] neg_lo:[0,1] neg_hi:[0,1]
	v_pk_fma_f32 v[20:21], v[26:27], v[32:33], v[20:21] op_sel_hi:[1,0,1]
	v_pk_fma_f32 v[10:11], v[10:11], v[30:31], v[12:13] op_sel_hi:[1,0,1] neg_lo:[1,0,0] neg_hi:[1,0,0]
	v_pk_mul_f32 v[12:13], v[34:35], v[24:25] op_sel:[0,1] op_sel_hi:[0,0] neg_hi:[0,1]
	v_pk_add_f32 v[8:9], v[8:9], v[20:21] neg_lo:[0,1] neg_hi:[0,1]
	v_pk_fma_f32 v[12:13], v[24:25], v[32:33], v[12:13] op_sel_hi:[1,0,1] neg_lo:[1,0,0] neg_hi:[1,0,0]
.LBB49_24:
	s_or_b64 exec, exec, s[4:5]
	s_barrier
	s_and_saveexec_b64 s[4:5], s[2:3]
	s_cbranch_execz .LBB49_26
; %bb.25:
	ds_write_b64 v18, v[6:7]
	ds_write_b64 v15, v[8:9]
	;; [unrolled: 1-line block ×4, first 2 shown]
.LBB49_26:
	s_or_b64 exec, exec, s[4:5]
	v_cmp_gt_u32_e32 vcc, 32, v0
	s_waitcnt lgkmcnt(0)
	s_barrier
	s_and_saveexec_b64 s[4:5], vcc
	s_cbranch_execz .LBB49_28
; %bb.27:
	ds_read2_b64 v[6:9], v18 offset1:32
	ds_read_b64 v[18:19], v17
	ds_read_b64 v[16:17], v16 offset:256
	s_waitcnt lgkmcnt(2)
	v_pk_mul_f32 v[10:11], v[6:7], v[8:9] op_sel:[1,1] op_sel_hi:[1,0] neg_lo:[0,1]
	v_pk_fma_f32 v[10:11], v[8:9], v[6:7], v[10:11] op_sel_hi:[1,0,1]
	s_waitcnt lgkmcnt(0)
	v_pk_mul_f32 v[12:13], v[16:17], v[18:19] op_sel:[1,1] op_sel_hi:[1,0] neg_lo:[0,1]
	v_pk_fma_f32 v[12:13], v[18:19], v[16:17], v[12:13] op_sel_hi:[1,0,1]
	v_pk_add_f32 v[20:21], v[10:11], v[12:13] neg_lo:[0,1] neg_hi:[0,1]
	v_mul_f32_e32 v22, v21, v21
	v_fmac_f32_e32 v22, v20, v20
	v_div_scale_f32 v23, s[6:7], v22, v22, 1.0
	v_rcp_f32_e32 v24, v23
	ds_read2_b64 v[10:13], v15 offset1:32
	v_fma_f32 v15, -v23, v24, 1.0
	v_fmac_f32_e32 v24, v15, v24
	v_div_scale_f32 v15, vcc, 1.0, v22, 1.0
	v_mul_f32_e32 v25, v15, v24
	v_fma_f32 v26, -v23, v25, v15
	v_fmac_f32_e32 v25, v26, v24
	v_fma_f32 v15, -v23, v25, v15
	v_div_fmas_f32 v15, v15, v24, v25
	s_waitcnt lgkmcnt(0)
	v_pk_mul_f32 v[24:25], v[10:11], v[8:9] op_sel:[1,1] op_sel_hi:[1,0] neg_lo:[0,1]
	v_pk_fma_f32 v[8:9], v[8:9], v[10:11], v[24:25] op_sel_hi:[1,0,1]
	v_pk_mul_f32 v[24:25], v[12:13], v[18:19] op_sel:[1,1] op_sel_hi:[1,0] neg_lo:[0,1]
	v_div_fixup_f32 v15, v15, v22, 1.0
	v_fma_f32 v22, 0, v21, v20
	v_fma_f32 v20, v20, 0, -v21
	v_pk_fma_f32 v[18:19], v[18:19], v[12:13], v[24:25] op_sel_hi:[1,0,1]
	v_mul_f32_e32 v20, v20, v15
	v_pk_add_f32 v[8:9], v[8:9], v[18:19] neg_lo:[0,1] neg_hi:[0,1]
	v_mul_f32_e32 v22, v22, v15
	v_pk_mul_f32 v[18:19], v[20:21], v[8:9] op_sel:[0,1] op_sel_hi:[0,0] neg_lo:[0,1]
	v_pk_fma_f32 v[8:9], v[8:9], v[22:23], v[18:19] op_sel_hi:[1,0,1]
	v_pk_mul_f32 v[18:19], v[6:7], v[12:13] op_sel:[1,1] op_sel_hi:[1,0] neg_lo:[0,1]
	v_pk_fma_f32 v[6:7], v[12:13], v[6:7], v[18:19] op_sel_hi:[1,0,1]
	;; [unrolled: 2-line block ×3, first 2 shown]
	v_pk_add_f32 v[6:7], v[6:7], v[10:11] neg_lo:[0,1] neg_hi:[0,1]
	v_pk_mul_f32 v[10:11], v[20:21], v[6:7] op_sel:[0,1] op_sel_hi:[0,0] neg_lo:[0,1]
	v_pk_fma_f32 v[6:7], v[6:7], v[22:23], v[10:11] op_sel_hi:[1,0,1]
	v_add_u32_e32 v10, 0x2800, v14
	ds_write2_b64 v10, v[8:9], v[6:7] offset0:192 offset1:224
.LBB49_28:
	s_or_b64 exec, exec, s[4:5]
	s_waitcnt lgkmcnt(0)
	s_barrier
	s_and_saveexec_b64 s[4:5], s[2:3]
	s_cbranch_execz .LBB49_30
; %bb.29:
	ds_read_b64 v[6:7], v14 offset:11776
	s_waitcnt lgkmcnt(0)
	ds_write_b64 v1, v[6:7] offset:6136
.LBB49_30:
	s_or_b64 exec, exec, s[4:5]
	s_waitcnt lgkmcnt(0)
	s_barrier
	s_and_saveexec_b64 s[4:5], s[2:3]
	s_cbranch_execz .LBB49_36
; %bb.31:
	v_lshlrev_b32_e32 v1, 2, v0
	v_cmp_ne_u32_e32 vcc, 0, v0
	v_lshlrev_b32_e32 v1, 3, v1
                                        ; implicit-def: $vgpr6_vgpr7
	s_and_saveexec_b64 s[2:3], vcc
	s_xor_b64 s[2:3], exec, s[2:3]
	s_cbranch_execz .LBB49_33
; %bb.32:
	v_add_u32_e32 v6, 8, v1
	ds_read2st64_b64 v[6:9], v6 offset1:4
	v_add_u32_e32 v10, 0x1000, v1
	v_add_u32_e32 v15, 0x1810, v1
	ds_read2_b64 v[10:13], v10 offset0:1 offset1:255
	ds_read2_b64 v[16:19], v15 offset0:1 offset1:255
	s_waitcnt lgkmcnt(2)
	v_mul_f32_e32 v20, v9, v9
	v_fmac_f32_e32 v20, v8, v8
	v_div_scale_f32 v21, s[6:7], v20, v20, 1.0
	v_rcp_f32_e32 v22, v21
	v_div_scale_f32 v15, vcc, 1.0, v20, 1.0
	v_fma_f32 v23, -v21, v22, 1.0
	v_fmac_f32_e32 v22, v23, v22
	v_mul_f32_e32 v23, v15, v22
	v_fma_f32 v24, -v21, v23, v15
	v_fmac_f32_e32 v23, v24, v22
	v_fma_f32 v15, -v21, v23, v15
	v_div_fmas_f32 v15, v15, v22, v23
	s_waitcnt lgkmcnt(1)
	v_pk_mul_f32 v[22:23], v[12:13], v[6:7] op_sel:[1,1] op_sel_hi:[1,0] neg_lo:[0,1]
	v_pk_fma_f32 v[6:7], v[6:7], v[12:13], v[22:23] op_sel_hi:[1,0,1]
	s_waitcnt lgkmcnt(0)
	v_pk_mul_f32 v[12:13], v[16:17], v[10:11] op_sel:[1,1] op_sel_hi:[1,0] neg_lo:[0,1]
	v_pk_add_f32 v[6:7], v[18:19], v[6:7] neg_lo:[0,1] neg_hi:[0,1]
	v_pk_fma_f32 v[10:11], v[10:11], v[16:17], v[12:13] op_sel_hi:[1,0,1]
	v_pk_add_f32 v[6:7], v[6:7], v[10:11] neg_lo:[0,1] neg_hi:[0,1]
	v_pk_mul_f32 v[10:11], v[8:9], v[6:7] op_sel:[1,1] op_sel_hi:[1,0] neg_hi:[0,1]
	v_div_fixup_f32 v20, v15, v20, 1.0
	v_pk_fma_f32 v[6:7], v[6:7], v[8:9], v[10:11] op_sel_hi:[1,0,1]
	v_pk_mul_f32 v[6:7], v[20:21], v[6:7] op_sel_hi:[0,1]
.LBB49_33:
	s_andn2_saveexec_b64 s[2:3], s[2:3]
	s_cbranch_execz .LBB49_35
; %bb.34:
	v_add_u32_e32 v6, 8, v1
	ds_read2st64_b64 v[6:9], v6 offset0:4 offset1:8
	v_add_u32_e32 v10, 0x1810, v1
	ds_read2_b64 v[10:13], v10 offset0:1 offset1:255
	s_waitcnt lgkmcnt(1)
	v_mul_f32_e32 v15, v7, v7
	v_fmac_f32_e32 v15, v6, v6
	v_div_scale_f32 v18, s[6:7], v15, v15, 1.0
	v_rcp_f32_e32 v19, v18
	v_div_scale_f32 v20, vcc, 1.0, v15, 1.0
	s_waitcnt lgkmcnt(0)
	v_pk_mul_f32 v[16:17], v[10:11], v[8:9] op_sel:[1,1] op_sel_hi:[1,0] neg_lo:[0,1]
	v_fma_f32 v21, -v18, v19, 1.0
	v_fmac_f32_e32 v19, v21, v19
	v_mul_f32_e32 v21, v20, v19
	v_fma_f32 v22, -v18, v21, v20
	v_fmac_f32_e32 v21, v22, v19
	v_pk_fma_f32 v[8:9], v[8:9], v[10:11], v[16:17] op_sel_hi:[1,0,1]
	v_fma_f32 v18, -v18, v21, v20
	v_pk_add_f32 v[8:9], v[12:13], v[8:9] neg_lo:[0,1] neg_hi:[0,1]
	v_div_fmas_f32 v18, v18, v19, v21
	v_pk_mul_f32 v[10:11], v[6:7], v[8:9] op_sel:[1,1] op_sel_hi:[1,0] neg_hi:[0,1]
	v_div_fixup_f32 v18, v18, v15, 1.0
	v_pk_fma_f32 v[6:7], v[8:9], v[6:7], v[10:11] op_sel_hi:[1,0,1]
	v_pk_mul_f32 v[6:7], v[18:19], v[6:7] op_sel_hi:[0,1]
.LBB49_35:
	s_or_b64 exec, exec, s[2:3]
	ds_write_b64 v1, v[6:7] offset:6152
.LBB49_36:
	s_or_b64 exec, exec, s[4:5]
	s_waitcnt lgkmcnt(0)
	s_barrier
	s_and_saveexec_b64 s[2:3], s[0:1]
	s_cbranch_execz .LBB49_42
; %bb.37:
	v_lshlrev_b32_e32 v1, 1, v0
	v_cmp_ne_u32_e32 vcc, 0, v0
	v_lshlrev_b32_e32 v6, 3, v1
                                        ; implicit-def: $vgpr0_vgpr1
	s_and_saveexec_b64 s[0:1], vcc
	s_xor_b64 s[0:1], exec, s[0:1]
	s_cbranch_execz .LBB49_39
; %bb.38:
	ds_read2st64_b64 v[8:11], v6 offset1:4
	v_add_u32_e32 v0, 0x1000, v6
	ds_read2_b64 v[16:19], v0 offset1:255
	v_add_u32_e32 v1, 0x1808, v6
	ds_read2_b64 v[20:23], v1 offset1:255
	s_waitcnt lgkmcnt(2)
	v_mul_f32_e32 v0, v11, v11
	v_fmac_f32_e32 v0, v10, v10
	v_div_scale_f32 v7, s[4:5], v0, v0, 1.0
	v_rcp_f32_e32 v12, v7
	v_div_scale_f32 v1, vcc, 1.0, v0, 1.0
	v_fma_f32 v13, -v7, v12, 1.0
	v_fmac_f32_e32 v12, v13, v12
	v_mul_f32_e32 v13, v1, v12
	v_fma_f32 v15, -v7, v13, v1
	v_fmac_f32_e32 v13, v15, v12
	v_fma_f32 v1, -v7, v13, v1
	v_div_fmas_f32 v1, v1, v12, v13
	s_waitcnt lgkmcnt(1)
	v_pk_mul_f32 v[12:13], v[18:19], v[8:9] op_sel:[1,1] op_sel_hi:[1,0] neg_lo:[0,1]
	v_pk_fma_f32 v[8:9], v[8:9], v[18:19], v[12:13] op_sel_hi:[1,0,1]
	s_waitcnt lgkmcnt(0)
	v_pk_mul_f32 v[12:13], v[20:21], v[16:17] op_sel:[1,1] op_sel_hi:[1,0] neg_lo:[0,1]
	v_pk_add_f32 v[8:9], v[22:23], v[8:9] neg_lo:[0,1] neg_hi:[0,1]
	v_pk_fma_f32 v[12:13], v[16:17], v[20:21], v[12:13] op_sel_hi:[1,0,1]
	v_pk_add_f32 v[8:9], v[8:9], v[12:13] neg_lo:[0,1] neg_hi:[0,1]
	v_pk_mul_f32 v[12:13], v[10:11], v[8:9] op_sel:[1,1] op_sel_hi:[1,0] neg_hi:[0,1]
	v_div_fixup_f32 v0, v1, v0, 1.0
	v_pk_fma_f32 v[8:9], v[8:9], v[10:11], v[12:13] op_sel_hi:[1,0,1]
	v_pk_mul_f32 v[0:1], v[0:1], v[8:9] op_sel_hi:[0,1]
.LBB49_39:
	s_andn2_saveexec_b64 s[0:1], s[0:1]
	s_cbranch_execz .LBB49_41
; %bb.40:
	ds_read2st64_b64 v[8:11], v6 offset0:4 offset1:8
	v_add_u32_e32 v0, 0x1808, v6
	ds_read2_b64 v[16:19], v0 offset1:255
	s_waitcnt lgkmcnt(1)
	v_mul_f32_e32 v7, v9, v9
	v_fmac_f32_e32 v7, v8, v8
	v_div_scale_f32 v12, s[4:5], v7, v7, 1.0
	v_rcp_f32_e32 v13, v12
	v_div_scale_f32 v15, vcc, 1.0, v7, 1.0
	s_waitcnt lgkmcnt(0)
	v_pk_mul_f32 v[0:1], v[16:17], v[10:11] op_sel:[1,1] op_sel_hi:[1,0] neg_lo:[0,1]
	v_fma_f32 v20, -v12, v13, 1.0
	v_fmac_f32_e32 v13, v20, v13
	v_mul_f32_e32 v20, v15, v13
	v_fma_f32 v21, -v12, v20, v15
	v_fmac_f32_e32 v20, v21, v13
	v_pk_fma_f32 v[0:1], v[10:11], v[16:17], v[0:1] op_sel_hi:[1,0,1]
	v_fma_f32 v12, -v12, v20, v15
	v_pk_add_f32 v[0:1], v[18:19], v[0:1] neg_lo:[0,1] neg_hi:[0,1]
	v_div_fmas_f32 v12, v12, v13, v20
	v_pk_mul_f32 v[10:11], v[8:9], v[0:1] op_sel:[1,1] op_sel_hi:[1,0] neg_hi:[0,1]
	v_div_fixup_f32 v12, v12, v7, 1.0
	v_pk_fma_f32 v[0:1], v[0:1], v[8:9], v[10:11] op_sel_hi:[1,0,1]
	v_pk_mul_f32 v[0:1], v[12:13], v[0:1] op_sel_hi:[0,1]
.LBB49_41:
	s_or_b64 exec, exec, s[0:1]
	ds_write_b64 v6, v[0:1] offset:6144
.LBB49_42:
	s_or_b64 exec, exec, s[2:3]
	s_waitcnt lgkmcnt(0)
	s_barrier
	ds_read2st64_b64 v[6:9], v14 offset0:12 offset1:14
	s_waitcnt lgkmcnt(0)
	global_store_dwordx2 v[2:3], v[6:7], off
	global_store_dwordx2 v[4:5], v[8:9], off
	s_endpgm
	.section	.rodata,"a",@progbits
	.p2align	6, 0x0
	.amdhsa_kernel _ZN9rocsparseL51gtsv_nopivot_strided_batch_crpcr_pow2_shared_kernelILj128ELj64E21rocsparse_complex_numIfEEEviiiPKT1_S5_S5_PS3_
		.amdhsa_group_segment_fixed_size 12800
		.amdhsa_private_segment_fixed_size 0
		.amdhsa_kernarg_size 48
		.amdhsa_user_sgpr_count 6
		.amdhsa_user_sgpr_private_segment_buffer 1
		.amdhsa_user_sgpr_dispatch_ptr 0
		.amdhsa_user_sgpr_queue_ptr 0
		.amdhsa_user_sgpr_kernarg_segment_ptr 1
		.amdhsa_user_sgpr_dispatch_id 0
		.amdhsa_user_sgpr_flat_scratch_init 0
		.amdhsa_user_sgpr_kernarg_preload_length 0
		.amdhsa_user_sgpr_kernarg_preload_offset 0
		.amdhsa_user_sgpr_private_segment_size 0
		.amdhsa_uses_dynamic_stack 0
		.amdhsa_system_sgpr_private_segment_wavefront_offset 0
		.amdhsa_system_sgpr_workgroup_id_x 1
		.amdhsa_system_sgpr_workgroup_id_y 0
		.amdhsa_system_sgpr_workgroup_id_z 0
		.amdhsa_system_sgpr_workgroup_info 0
		.amdhsa_system_vgpr_workitem_id 0
		.amdhsa_next_free_vgpr 36
		.amdhsa_next_free_sgpr 16
		.amdhsa_accum_offset 36
		.amdhsa_reserve_vcc 1
		.amdhsa_reserve_flat_scratch 0
		.amdhsa_float_round_mode_32 0
		.amdhsa_float_round_mode_16_64 0
		.amdhsa_float_denorm_mode_32 3
		.amdhsa_float_denorm_mode_16_64 3
		.amdhsa_dx10_clamp 1
		.amdhsa_ieee_mode 1
		.amdhsa_fp16_overflow 0
		.amdhsa_tg_split 0
		.amdhsa_exception_fp_ieee_invalid_op 0
		.amdhsa_exception_fp_denorm_src 0
		.amdhsa_exception_fp_ieee_div_zero 0
		.amdhsa_exception_fp_ieee_overflow 0
		.amdhsa_exception_fp_ieee_underflow 0
		.amdhsa_exception_fp_ieee_inexact 0
		.amdhsa_exception_int_div_zero 0
	.end_amdhsa_kernel
	.section	.text._ZN9rocsparseL51gtsv_nopivot_strided_batch_crpcr_pow2_shared_kernelILj128ELj64E21rocsparse_complex_numIfEEEviiiPKT1_S5_S5_PS3_,"axG",@progbits,_ZN9rocsparseL51gtsv_nopivot_strided_batch_crpcr_pow2_shared_kernelILj128ELj64E21rocsparse_complex_numIfEEEviiiPKT1_S5_S5_PS3_,comdat
.Lfunc_end49:
	.size	_ZN9rocsparseL51gtsv_nopivot_strided_batch_crpcr_pow2_shared_kernelILj128ELj64E21rocsparse_complex_numIfEEEviiiPKT1_S5_S5_PS3_, .Lfunc_end49-_ZN9rocsparseL51gtsv_nopivot_strided_batch_crpcr_pow2_shared_kernelILj128ELj64E21rocsparse_complex_numIfEEEviiiPKT1_S5_S5_PS3_
                                        ; -- End function
	.section	.AMDGPU.csdata,"",@progbits
; Kernel info:
; codeLenInByte = 5348
; NumSgprs: 20
; NumVgprs: 36
; NumAgprs: 0
; TotalNumVgprs: 36
; ScratchSize: 0
; MemoryBound: 0
; FloatMode: 240
; IeeeMode: 1
; LDSByteSize: 12800 bytes/workgroup (compile time only)
; SGPRBlocks: 2
; VGPRBlocks: 4
; NumSGPRsForWavesPerEU: 20
; NumVGPRsForWavesPerEU: 36
; AccumOffset: 36
; Occupancy: 3
; WaveLimiterHint : 0
; COMPUTE_PGM_RSRC2:SCRATCH_EN: 0
; COMPUTE_PGM_RSRC2:USER_SGPR: 6
; COMPUTE_PGM_RSRC2:TRAP_HANDLER: 0
; COMPUTE_PGM_RSRC2:TGID_X_EN: 1
; COMPUTE_PGM_RSRC2:TGID_Y_EN: 0
; COMPUTE_PGM_RSRC2:TGID_Z_EN: 0
; COMPUTE_PGM_RSRC2:TIDIG_COMP_CNT: 0
; COMPUTE_PGM_RSRC3_GFX90A:ACCUM_OFFSET: 8
; COMPUTE_PGM_RSRC3_GFX90A:TG_SPLIT: 0
	.section	.text._ZN9rocsparseL51gtsv_nopivot_strided_batch_crpcr_pow2_shared_kernelILj256ELj64E21rocsparse_complex_numIfEEEviiiPKT1_S5_S5_PS3_,"axG",@progbits,_ZN9rocsparseL51gtsv_nopivot_strided_batch_crpcr_pow2_shared_kernelILj256ELj64E21rocsparse_complex_numIfEEEviiiPKT1_S5_S5_PS3_,comdat
	.globl	_ZN9rocsparseL51gtsv_nopivot_strided_batch_crpcr_pow2_shared_kernelILj256ELj64E21rocsparse_complex_numIfEEEviiiPKT1_S5_S5_PS3_ ; -- Begin function _ZN9rocsparseL51gtsv_nopivot_strided_batch_crpcr_pow2_shared_kernelILj256ELj64E21rocsparse_complex_numIfEEEviiiPKT1_S5_S5_PS3_
	.p2align	8
	.type	_ZN9rocsparseL51gtsv_nopivot_strided_batch_crpcr_pow2_shared_kernelILj256ELj64E21rocsparse_complex_numIfEEEviiiPKT1_S5_S5_PS3_,@function
_ZN9rocsparseL51gtsv_nopivot_strided_batch_crpcr_pow2_shared_kernelILj256ELj64E21rocsparse_complex_numIfEEEviiiPKT1_S5_S5_PS3_: ; @_ZN9rocsparseL51gtsv_nopivot_strided_batch_crpcr_pow2_shared_kernelILj256ELj64E21rocsparse_complex_numIfEEEviiiPKT1_S5_S5_PS3_
; %bb.0:
	s_load_dword s0, s[4:5], 0x8
	s_load_dwordx8 s[8:15], s[4:5], 0x10
	v_lshlrev_b32_e32 v14, 3, v0
	v_add_u32_e32 v19, 1, v0
	s_waitcnt lgkmcnt(0)
	s_mul_i32 s6, s6, s0
	v_add_u32_e32 v2, s6, v0
	v_ashrrev_i32_e32 v3, 31, v2
	v_lshlrev_b64 v[4:5], 3, v[2:3]
	v_mov_b32_e32 v1, s9
	v_add_co_u32_e32 v6, vcc, s8, v4
	v_add_u32_e32 v2, 0x100, v2
	v_mov_b32_e32 v3, 0
	v_addc_co_u32_e32 v7, vcc, v1, v5, vcc
	v_lshlrev_b64 v[8:9], 3, v[2:3]
	v_add_co_u32_e32 v2, vcc, s8, v8
	v_addc_co_u32_e32 v3, vcc, v1, v9, vcc
	global_load_dwordx2 v[10:11], v[6:7], off
	global_load_dwordx2 v[12:13], v[2:3], off
	v_mov_b32_e32 v1, s11
	v_add_co_u32_e32 v2, vcc, s10, v4
	v_addc_co_u32_e32 v3, vcc, v1, v5, vcc
	v_add_co_u32_e32 v6, vcc, s10, v8
	v_addc_co_u32_e32 v7, vcc, v1, v9, vcc
	global_load_dwordx2 v[16:17], v[2:3], off
	global_load_dwordx2 v[20:21], v[6:7], off
	v_mov_b32_e32 v1, s13
	v_add_co_u32_e32 v2, vcc, s12, v4
	v_addc_co_u32_e32 v3, vcc, v1, v5, vcc
	;; [unrolled: 7-line block ×3, first 2 shown]
	v_add_co_u32_e32 v4, vcc, s14, v8
	v_addc_co_u32_e32 v5, vcc, v1, v9, vcc
	global_load_dwordx2 v[6:7], v[2:3], off
	global_load_dwordx2 v[8:9], v[4:5], off
	s_movk_i32 s0, 0x100
	v_cmp_gt_u32_e64 s[0:1], s0, v0
	s_waitcnt vmcnt(6)
	ds_write2st64_b64 v14, v[10:11], v[12:13] offset1:4
	s_waitcnt vmcnt(4)
	ds_write2st64_b64 v14, v[16:17], v[20:21] offset0:8 offset1:12
	s_waitcnt vmcnt(2)
	ds_write2st64_b64 v14, v[22:23], v[24:25] offset0:16 offset1:20
	;; [unrolled: 2-line block ×3, first 2 shown]
	s_waitcnt lgkmcnt(0)
	s_barrier
	s_and_saveexec_b64 s[2:3], s[0:1]
	s_cbranch_execz .LBB50_2
; %bb.1:
	v_lshlrev_b32_e32 v1, 4, v19
	v_add_u32_e32 v6, 0x800, v1
	ds_read2_b64 v[6:9], v6 offset0:254 offset1:255
	v_lshlrev_b32_e32 v10, 1, v19
	v_min_u32_e32 v10, 0x1ff, v10
	v_add_u32_e32 v15, -8, v1
	v_lshlrev_b32_e32 v31, 3, v10
	s_waitcnt lgkmcnt(0)
	v_mul_f32_e32 v11, v7, v7
	v_fmac_f32_e32 v11, v6, v6
	v_div_scale_f32 v12, s[4:5], v11, v11, 1.0
	v_rcp_f32_e32 v13, v12
	v_div_scale_f32 v16, vcc, 1.0, v11, 1.0
	v_add_u32_e32 v18, -16, v1
	v_fma_f32 v17, -v12, v13, 1.0
	v_fmac_f32_e32 v13, v17, v13
	v_mul_f32_e32 v17, v16, v13
	v_fma_f32 v20, -v12, v17, v16
	v_fmac_f32_e32 v17, v20, v13
	v_fma_f32 v12, -v12, v17, v16
	v_div_fmas_f32 v12, v12, v13, v17
	ds_read_b64 v[16:17], v15
	v_div_fixup_f32 v20, v12, v11, 1.0
	ds_read2st64_b64 v[10:13], v31 offset1:8
	ds_read_b64 v[28:29], v18
	s_waitcnt lgkmcnt(2)
	v_mul_f32_e32 v18, v7, v17
	s_waitcnt lgkmcnt(1)
	v_mul_f32_e32 v24, v13, v13
	v_fmac_f32_e32 v24, v12, v12
	v_div_scale_f32 v21, s[4:5], v24, v24, 1.0
	v_rcp_f32_e32 v25, v21
	v_mul_f32_e64 v7, v7, -v16
	v_fmac_f32_e32 v18, v16, v6
	v_fmac_f32_e32 v7, v17, v6
	v_fma_f32 v6, -v21, v25, 1.0
	v_fmac_f32_e32 v25, v6, v25
	v_div_scale_f32 v6, vcc, 1.0, v24, 1.0
	v_mul_f32_e32 v16, v7, v20
	v_mul_f32_e32 v7, v6, v25
	v_fma_f32 v17, -v21, v7, v6
	v_fmac_f32_e32 v7, v17, v25
	v_mul_f32_e32 v18, v20, v18
	v_fma_f32 v6, -v21, v7, v6
	ds_read_b128 v[20:23], v1 offset:8176
	v_div_fmas_f32 v6, v6, v25, v7
	v_div_fixup_f32 v6, v6, v24, 1.0
	ds_read_b128 v[24:27], v1 offset:16368
	s_waitcnt lgkmcnt(1)
	v_mul_f32_e32 v7, v13, v23
	v_fmac_f32_e32 v7, v22, v12
	v_mul_f32_e32 v30, v6, v7
	v_mul_f32_e64 v7, v13, -v22
	v_fmac_f32_e32 v7, v23, v12
	v_mul_f32_e32 v12, v7, v6
	v_pk_mul_f32 v[6:7], v[16:17], v[20:21] op_sel:[0,1] op_sel_hi:[0,0] neg_lo:[0,1]
	v_pk_fma_f32 v[6:7], v[20:21], v[18:19], v[6:7] op_sel_hi:[1,0,1]
	v_pk_add_f32 v[20:21], v[8:9], v[6:7] neg_lo:[0,1] neg_hi:[0,1]
	v_pk_mul_f32 v[6:7], v[12:13], v[10:11] op_sel:[0,1] op_sel_hi:[0,0] neg_lo:[0,1]
	v_pk_fma_f32 v[10:11], v[10:11], v[30:31], v[6:7] op_sel_hi:[1,0,1]
	ds_read2st64_b64 v[6:9], v31 offset0:16 offset1:32
	v_pk_add_f32 v[10:11], v[20:21], v[10:11] neg_lo:[0,1] neg_hi:[0,1]
	s_waitcnt lgkmcnt(1)
	v_pk_mul_f32 v[20:21], v[16:17], v[24:25] op_sel:[0,1] op_sel_hi:[0,0] neg_lo:[0,1]
	v_pk_fma_f32 v[20:21], v[24:25], v[18:19], v[20:21] op_sel_hi:[1,0,1]
	v_pk_add_f32 v[20:21], v[26:27], v[20:21] neg_lo:[0,1] neg_hi:[0,1]
	s_waitcnt lgkmcnt(0)
	v_pk_mul_f32 v[22:23], v[12:13], v[8:9] op_sel:[0,1] op_sel_hi:[0,0] neg_lo:[0,1]
	v_pk_fma_f32 v[8:9], v[8:9], v[30:31], v[22:23] op_sel_hi:[1,0,1]
	v_pk_add_f32 v[8:9], v[20:21], v[8:9] neg_lo:[0,1] neg_hi:[0,1]
	ds_write_b64 v1, v[8:9] offset:16376
	v_pk_mul_f32 v[8:9], v[16:17], v[28:29] op_sel:[0,1] op_sel_hi:[0,0] neg_hi:[0,1]
	v_pk_fma_f32 v[8:9], v[28:29], v[18:19], v[8:9] op_sel_hi:[1,0,1] neg_lo:[1,0,0] neg_hi:[1,0,0]
	ds_write_b64 v15, v[8:9]
	v_pk_mul_f32 v[8:9], v[12:13], v[6:7] op_sel:[0,1] op_sel_hi:[0,0] neg_hi:[0,1]
	v_pk_fma_f32 v[6:7], v[6:7], v[30:31], v[8:9] op_sel_hi:[1,0,1] neg_lo:[1,0,0] neg_hi:[1,0,0]
	v_add_u32_e32 v1, 0x1f8, v1
	ds_write2st64_b64 v1, v[10:11], v[6:7] offset0:7 offset1:15
.LBB50_2:
	s_or_b64 exec, exec, s[2:3]
	s_movk_i32 s2, 0x80
	v_cmp_gt_u32_e64 s[2:3], s2, v0
	s_waitcnt lgkmcnt(0)
	s_barrier
	s_and_saveexec_b64 s[4:5], s[2:3]
	s_cbranch_execz .LBB50_4
; %bb.3:
	v_lshlrev_b32_e32 v1, 5, v19
	v_add_u32_e32 v6, 0x800, v1
	ds_read2_b64 v[6:9], v6 offset0:253 offset1:255
	v_lshl_or_b32 v10, v19, 2, 1
	v_min_u32_e32 v10, 0x1ff, v10
	v_add_u32_e32 v15, -8, v1
	v_lshlrev_b32_e32 v27, 3, v10
	s_waitcnt lgkmcnt(0)
	v_mul_f32_e32 v11, v7, v7
	v_fmac_f32_e32 v11, v6, v6
	v_div_scale_f32 v12, s[6:7], v11, v11, 1.0
	v_rcp_f32_e32 v13, v12
	v_div_scale_f32 v16, vcc, 1.0, v11, 1.0
	v_subrev_u32_e32 v18, 24, v1
	v_fma_f32 v17, -v12, v13, 1.0
	v_fmac_f32_e32 v13, v17, v13
	v_mul_f32_e32 v20, v16, v13
	v_fma_f32 v17, -v12, v20, v16
	v_fmac_f32_e32 v20, v17, v13
	v_fma_f32 v12, -v12, v20, v16
	ds_read_b64 v[16:17], v15
	ds_read_b64 v[24:25], v18
	v_div_fmas_f32 v12, v12, v13, v20
	v_div_fixup_f32 v20, v12, v11, 1.0
	ds_read2st64_b64 v[10:13], v27 offset1:8
	s_waitcnt lgkmcnt(2)
	v_mul_f32_e32 v18, v7, v17
	v_mul_f32_e64 v7, v7, -v16
	v_fmac_f32_e32 v18, v16, v6
	v_fmac_f32_e32 v7, v17, v6
	s_waitcnt lgkmcnt(0)
	v_mul_f32_e32 v6, v13, v13
	v_fmac_f32_e32 v6, v12, v12
	v_div_scale_f32 v17, s[6:7], v6, v6, 1.0
	v_rcp_f32_e32 v26, v17
	v_mul_f32_e32 v16, v7, v20
	v_add_u32_e32 v7, 0x1800, v1
	v_mul_f32_e32 v18, v20, v18
	ds_read2_b64 v[20:23], v7 offset0:253 offset1:255
	v_fma_f32 v7, -v17, v26, 1.0
	v_fmac_f32_e32 v26, v7, v26
	v_div_scale_f32 v7, vcc, 1.0, v6, 1.0
	v_mul_f32_e32 v28, v7, v26
	v_fma_f32 v29, -v17, v28, v7
	v_fmac_f32_e32 v28, v29, v26
	v_fma_f32 v7, -v17, v28, v7
	v_div_fmas_f32 v7, v7, v26, v28
	v_div_fixup_f32 v6, v7, v6, 1.0
	s_waitcnt lgkmcnt(0)
	v_mul_f32_e32 v7, v13, v23
	v_fmac_f32_e32 v7, v22, v12
	v_mul_f32_e32 v26, v6, v7
	v_mul_f32_e64 v7, v13, -v22
	v_fmac_f32_e32 v7, v23, v12
	v_mul_f32_e32 v22, v7, v6
	v_pk_mul_f32 v[6:7], v[16:17], v[20:21] op_sel:[0,1] op_sel_hi:[0,0] neg_lo:[0,1]
	v_pk_fma_f32 v[6:7], v[20:21], v[18:19], v[6:7] op_sel_hi:[1,0,1]
	v_pk_add_f32 v[20:21], v[8:9], v[6:7] neg_lo:[0,1] neg_hi:[0,1]
	v_add_u32_e32 v6, 0x3800, v1
	ds_read2_b64 v[6:9], v6 offset0:253 offset1:255
	v_pk_mul_f32 v[12:13], v[22:23], v[10:11] op_sel:[0,1] op_sel_hi:[0,0] neg_lo:[0,1]
	v_pk_fma_f32 v[28:29], v[10:11], v[26:27], v[12:13] op_sel_hi:[1,0,1]
	ds_read2st64_b64 v[10:13], v27 offset0:16 offset1:32
	v_pk_add_f32 v[20:21], v[20:21], v[28:29] neg_lo:[0,1] neg_hi:[0,1]
	s_waitcnt lgkmcnt(1)
	v_pk_mul_f32 v[28:29], v[16:17], v[6:7] op_sel:[0,1] op_sel_hi:[0,0] neg_lo:[0,1]
	v_pk_fma_f32 v[6:7], v[6:7], v[18:19], v[28:29] op_sel_hi:[1,0,1]
	v_pk_add_f32 v[6:7], v[8:9], v[6:7] neg_lo:[0,1] neg_hi:[0,1]
	s_waitcnt lgkmcnt(0)
	v_pk_mul_f32 v[8:9], v[22:23], v[12:13] op_sel:[0,1] op_sel_hi:[0,0] neg_lo:[0,1]
	v_pk_fma_f32 v[8:9], v[12:13], v[26:27], v[8:9] op_sel_hi:[1,0,1]
	v_pk_add_f32 v[6:7], v[6:7], v[8:9] neg_lo:[0,1] neg_hi:[0,1]
	ds_write_b64 v1, v[6:7] offset:16376
	v_pk_mul_f32 v[6:7], v[16:17], v[24:25] op_sel:[0,1] op_sel_hi:[0,0] neg_hi:[0,1]
	v_pk_fma_f32 v[6:7], v[24:25], v[18:19], v[6:7] op_sel_hi:[1,0,1] neg_lo:[1,0,0] neg_hi:[1,0,0]
	ds_write_b64 v15, v[6:7]
	v_pk_mul_f32 v[6:7], v[22:23], v[10:11] op_sel:[0,1] op_sel_hi:[0,0] neg_hi:[0,1]
	v_pk_fma_f32 v[6:7], v[10:11], v[26:27], v[6:7] op_sel_hi:[1,0,1] neg_lo:[1,0,0] neg_hi:[1,0,0]
	v_add_u32_e32 v1, 0x1f8, v1
	ds_write2st64_b64 v1, v[20:21], v[6:7] offset0:7 offset1:15
.LBB50_4:
	s_or_b64 exec, exec, s[4:5]
	v_cmp_gt_u32_e64 s[4:5], 64, v0
	v_lshlrev_b32_e32 v1, 6, v19
	s_waitcnt lgkmcnt(0)
	s_barrier
	s_and_saveexec_b64 s[6:7], s[4:5]
	s_cbranch_execz .LBB50_6
; %bb.5:
	v_add_u32_e32 v6, 0x800, v1
	ds_read2_b64 v[6:9], v6 offset0:251 offset1:255
	v_lshl_or_b32 v10, v19, 3, 3
	v_add_u32_e32 v15, -8, v1
	v_min_u32_e32 v10, 0x1ff, v10
	v_subrev_u32_e32 v11, 40, v1
	s_waitcnt lgkmcnt(0)
	v_mul_f32_e32 v12, v7, v7
	v_fmac_f32_e32 v12, v6, v6
	v_div_scale_f32 v13, s[8:9], v12, v12, 1.0
	v_rcp_f32_e32 v18, v13
	v_div_scale_f32 v16, vcc, 1.0, v12, 1.0
	v_lshlrev_b32_e32 v27, 3, v10
	v_fma_f32 v17, -v13, v18, 1.0
	v_fmac_f32_e32 v18, v17, v18
	v_mul_f32_e32 v20, v16, v18
	v_fma_f32 v17, -v13, v20, v16
	v_fmac_f32_e32 v20, v17, v18
	v_fma_f32 v13, -v13, v20, v16
	ds_read_b64 v[16:17], v15
	ds_read_b64 v[24:25], v11
	v_div_fmas_f32 v13, v13, v18, v20
	v_div_fixup_f32 v20, v13, v12, 1.0
	ds_read2st64_b64 v[10:13], v27 offset1:8
	s_waitcnt lgkmcnt(2)
	v_mul_f32_e32 v18, v7, v17
	v_mul_f32_e64 v7, v7, -v16
	v_fmac_f32_e32 v18, v16, v6
	v_fmac_f32_e32 v7, v17, v6
	s_waitcnt lgkmcnt(0)
	v_mul_f32_e32 v6, v13, v13
	v_fmac_f32_e32 v6, v12, v12
	v_div_scale_f32 v17, s[8:9], v6, v6, 1.0
	v_rcp_f32_e32 v26, v17
	v_mul_f32_e32 v16, v7, v20
	v_add_u32_e32 v7, 0x1800, v1
	v_mul_f32_e32 v18, v20, v18
	ds_read2_b64 v[20:23], v7 offset0:251 offset1:255
	v_fma_f32 v7, -v17, v26, 1.0
	v_fmac_f32_e32 v26, v7, v26
	v_div_scale_f32 v7, vcc, 1.0, v6, 1.0
	v_mul_f32_e32 v28, v7, v26
	v_fma_f32 v29, -v17, v28, v7
	v_fmac_f32_e32 v28, v29, v26
	v_fma_f32 v7, -v17, v28, v7
	v_div_fmas_f32 v7, v7, v26, v28
	v_div_fixup_f32 v6, v7, v6, 1.0
	s_waitcnt lgkmcnt(0)
	v_mul_f32_e32 v7, v13, v23
	v_fmac_f32_e32 v7, v22, v12
	v_mul_f32_e32 v26, v6, v7
	v_mul_f32_e64 v7, v13, -v22
	v_fmac_f32_e32 v7, v23, v12
	v_mul_f32_e32 v22, v7, v6
	v_pk_mul_f32 v[6:7], v[16:17], v[20:21] op_sel:[0,1] op_sel_hi:[0,0] neg_lo:[0,1]
	v_pk_fma_f32 v[6:7], v[20:21], v[18:19], v[6:7] op_sel_hi:[1,0,1]
	v_pk_add_f32 v[20:21], v[8:9], v[6:7] neg_lo:[0,1] neg_hi:[0,1]
	v_add_u32_e32 v6, 0x3800, v1
	ds_read2_b64 v[6:9], v6 offset0:251 offset1:255
	v_pk_mul_f32 v[12:13], v[22:23], v[10:11] op_sel:[0,1] op_sel_hi:[0,0] neg_lo:[0,1]
	v_pk_fma_f32 v[28:29], v[10:11], v[26:27], v[12:13] op_sel_hi:[1,0,1]
	ds_read2st64_b64 v[10:13], v27 offset0:16 offset1:32
	v_pk_add_f32 v[20:21], v[20:21], v[28:29] neg_lo:[0,1] neg_hi:[0,1]
	s_waitcnt lgkmcnt(1)
	v_pk_mul_f32 v[28:29], v[16:17], v[6:7] op_sel:[0,1] op_sel_hi:[0,0] neg_lo:[0,1]
	v_pk_fma_f32 v[6:7], v[6:7], v[18:19], v[28:29] op_sel_hi:[1,0,1]
	v_pk_add_f32 v[6:7], v[8:9], v[6:7] neg_lo:[0,1] neg_hi:[0,1]
	s_waitcnt lgkmcnt(0)
	v_pk_mul_f32 v[8:9], v[22:23], v[12:13] op_sel:[0,1] op_sel_hi:[0,0] neg_lo:[0,1]
	v_pk_fma_f32 v[8:9], v[12:13], v[26:27], v[8:9] op_sel_hi:[1,0,1]
	v_pk_add_f32 v[6:7], v[6:7], v[8:9] neg_lo:[0,1] neg_hi:[0,1]
	ds_write_b64 v1, v[6:7] offset:16376
	v_pk_mul_f32 v[6:7], v[16:17], v[24:25] op_sel:[0,1] op_sel_hi:[0,0] neg_hi:[0,1]
	v_pk_fma_f32 v[6:7], v[24:25], v[18:19], v[6:7] op_sel_hi:[1,0,1] neg_lo:[1,0,0] neg_hi:[1,0,0]
	ds_write_b64 v15, v[6:7]
	v_pk_mul_f32 v[6:7], v[22:23], v[10:11] op_sel:[0,1] op_sel_hi:[0,0] neg_hi:[0,1]
	v_pk_fma_f32 v[6:7], v[10:11], v[26:27], v[6:7] op_sel_hi:[1,0,1] neg_lo:[1,0,0] neg_hi:[1,0,0]
	v_add_u32_e32 v8, 0x1f8, v1
	ds_write2st64_b64 v8, v[20:21], v[6:7] offset0:7 offset1:15
.LBB50_6:
	s_or_b64 exec, exec, s[6:7]
	s_waitcnt lgkmcnt(0)
	s_barrier
	s_and_saveexec_b64 s[6:7], s[4:5]
	s_cbranch_execz .LBB50_8
; %bb.7:
	v_add_u32_e32 v10, -8, v1
	v_add_u32_e32 v6, 0x1f8, v1
	ds_read2st64_b64 v[6:9], v6 offset0:7 offset1:15
	ds_read_b64 v[10:11], v10
	ds_read_b64 v[12:13], v1 offset:16376
	s_waitcnt lgkmcnt(1)
	ds_write2st64_b64 v14, v[10:11], v[6:7] offset0:40 offset1:41
	s_waitcnt lgkmcnt(1)
	ds_write2st64_b64 v14, v[8:9], v[12:13] offset0:42 offset1:44
.LBB50_8:
	s_or_b64 exec, exec, s[6:7]
	v_or_b32_e32 v16, 0x5000, v14
	v_add_u32_e32 v17, 0x5400, v14
	v_add_u32_e32 v18, 0x5200, v14
	v_or_b32_e32 v15, 0x5800, v14
	s_waitcnt lgkmcnt(0)
	s_barrier
	s_waitcnt lgkmcnt(0)
                                        ; implicit-def: $vgpr6_vgpr7
                                        ; implicit-def: $vgpr8_vgpr9
                                        ; implicit-def: $vgpr10_vgpr11
                                        ; implicit-def: $vgpr12_vgpr13
	s_and_saveexec_b64 s[6:7], s[4:5]
	s_cbranch_execz .LBB50_10
; %bb.9:
	v_max_u32_e32 v6, 1, v0
	v_lshlrev_b32_e32 v6, 3, v6
	v_add_u32_e32 v22, 0x1f8, v6
	ds_read2st64_b64 v[10:13], v22 offset0:39 offset1:40
	v_min_u32_e32 v6, 63, v19
	v_lshlrev_b32_e32 v19, 3, v6
	s_waitcnt lgkmcnt(0)
	v_mul_f32_e32 v7, v13, v13
	v_fmac_f32_e32 v7, v12, v12
	v_div_scale_f32 v8, s[8:9], v7, v7, 1.0
	v_rcp_f32_e32 v9, v8
	v_div_scale_f32 v6, vcc, 1.0, v7, 1.0
	v_fma_f32 v20, -v8, v9, 1.0
	v_fmac_f32_e32 v9, v20, v9
	v_mul_f32_e32 v20, v6, v9
	v_fma_f32 v21, -v8, v20, v6
	v_fmac_f32_e32 v20, v21, v9
	v_fma_f32 v6, -v8, v20, v6
	v_div_fmas_f32 v6, v6, v9, v20
	v_div_fixup_f32 v23, v6, v7, 1.0
	ds_read_b64 v[20:21], v16
	ds_read2st64_b64 v[6:9], v19 offset0:40 offset1:41
	ds_read_b64 v[24:25], v17
	ds_read_b64 v[26:27], v18
	;; [unrolled: 1-line block ×3, first 2 shown]
	s_waitcnt lgkmcnt(4)
	v_mul_f32_e32 v30, v13, v21
	s_waitcnt lgkmcnt(3)
	v_mul_f32_e32 v31, v9, v9
	v_fmac_f32_e32 v31, v8, v8
	v_div_scale_f32 v32, s[8:9], v31, v31, 1.0
	v_rcp_f32_e32 v33, v32
	v_mul_f32_e64 v13, v13, -v20
	v_fmac_f32_e32 v13, v21, v12
	v_fmac_f32_e32 v30, v20, v12
	v_mul_f32_e32 v12, v13, v23
	v_fma_f32 v13, -v32, v33, 1.0
	v_fmac_f32_e32 v33, v13, v33
	v_div_scale_f32 v13, vcc, 1.0, v31, 1.0
	v_mul_f32_e32 v20, v13, v33
	v_fma_f32 v21, -v32, v20, v13
	v_fmac_f32_e32 v20, v21, v33
	v_fma_f32 v13, -v32, v20, v13
	v_mul_f32_e32 v30, v23, v30
	v_div_fmas_f32 v13, v13, v33, v20
	ds_read2st64_b64 v[20:23], v22 offset0:41 offset1:43
	v_div_fixup_f32 v13, v13, v31, 1.0
	s_waitcnt lgkmcnt(3)
	v_mul_f32_e32 v31, v9, v25
	v_mul_f32_e64 v9, v9, -v24
	v_fmac_f32_e32 v9, v25, v8
	v_fmac_f32_e32 v31, v24, v8
	v_mul_f32_e32 v34, v9, v13
	s_waitcnt lgkmcnt(0)
	v_pk_mul_f32 v[8:9], v[12:13], v[20:21] op_sel:[0,1] op_sel_hi:[0,0] neg_lo:[0,1]
	v_pk_fma_f32 v[8:9], v[20:21], v[30:31], v[8:9] op_sel_hi:[1,0,1]
	v_pk_add_f32 v[8:9], v[26:27], v[8:9] neg_lo:[0,1] neg_hi:[0,1]
	ds_read2st64_b64 v[24:27], v19 offset0:42 offset1:44
	v_mul_f32_e32 v32, v13, v31
	v_pk_mul_f32 v[20:21], v[34:35], v[6:7] op_sel:[0,1] op_sel_hi:[0,0] neg_lo:[0,1]
	v_pk_fma_f32 v[6:7], v[6:7], v[32:33], v[20:21] op_sel_hi:[1,0,1]
	v_pk_add_f32 v[6:7], v[8:9], v[6:7] neg_lo:[0,1] neg_hi:[0,1]
	v_pk_mul_f32 v[8:9], v[12:13], v[22:23] op_sel:[0,1] op_sel_hi:[0,0] neg_lo:[0,1]
	v_pk_fma_f32 v[8:9], v[22:23], v[30:31], v[8:9] op_sel_hi:[1,0,1]
	s_waitcnt lgkmcnt(0)
	v_pk_mul_f32 v[20:21], v[34:35], v[26:27] op_sel:[0,1] op_sel_hi:[0,0] neg_lo:[0,1]
	v_pk_mul_f32 v[12:13], v[12:13], v[10:11] op_sel:[0,1] op_sel_hi:[0,0] neg_hi:[0,1]
	v_pk_add_f32 v[8:9], v[28:29], v[8:9] neg_lo:[0,1] neg_hi:[0,1]
	v_pk_fma_f32 v[20:21], v[26:27], v[32:33], v[20:21] op_sel_hi:[1,0,1]
	v_pk_fma_f32 v[10:11], v[10:11], v[30:31], v[12:13] op_sel_hi:[1,0,1] neg_lo:[1,0,0] neg_hi:[1,0,0]
	v_pk_mul_f32 v[12:13], v[34:35], v[24:25] op_sel:[0,1] op_sel_hi:[0,0] neg_hi:[0,1]
	v_pk_add_f32 v[8:9], v[8:9], v[20:21] neg_lo:[0,1] neg_hi:[0,1]
	v_pk_fma_f32 v[12:13], v[24:25], v[32:33], v[12:13] op_sel_hi:[1,0,1] neg_lo:[1,0,0] neg_hi:[1,0,0]
.LBB50_10:
	s_or_b64 exec, exec, s[6:7]
	s_barrier
	s_and_saveexec_b64 s[6:7], s[4:5]
	s_cbranch_execz .LBB50_12
; %bb.11:
	ds_write_b64 v18, v[6:7]
	ds_write_b64 v15, v[8:9]
	;; [unrolled: 1-line block ×4, first 2 shown]
.LBB50_12:
	s_or_b64 exec, exec, s[6:7]
	s_waitcnt lgkmcnt(0)
	s_barrier
	s_and_saveexec_b64 s[6:7], s[4:5]
	s_cbranch_execz .LBB50_14
; %bb.13:
	v_max_u32_e32 v6, 2, v0
	v_lshlrev_b32_e32 v6, 3, v6
	v_add_u32_e32 v19, 0x1f0, v6
	ds_read2st64_b64 v[10:13], v19 offset0:39 offset1:40
	v_min_u32_e32 v6, 61, v0
	v_lshlrev_b32_e32 v6, 3, v6
	v_add_u32_e32 v31, 16, v6
	s_waitcnt lgkmcnt(0)
	v_mul_f32_e32 v7, v13, v13
	v_fmac_f32_e32 v7, v12, v12
	v_div_scale_f32 v8, s[8:9], v7, v7, 1.0
	v_rcp_f32_e32 v9, v8
	v_div_scale_f32 v6, vcc, 1.0, v7, 1.0
	v_fma_f32 v20, -v8, v9, 1.0
	v_fmac_f32_e32 v9, v20, v9
	v_mul_f32_e32 v20, v6, v9
	v_fma_f32 v21, -v8, v20, v6
	v_fmac_f32_e32 v20, v21, v9
	v_fma_f32 v6, -v8, v20, v6
	v_div_fmas_f32 v6, v6, v9, v20
	v_div_fixup_f32 v22, v6, v7, 1.0
	ds_read_b64 v[20:21], v16
	ds_read2st64_b64 v[6:9], v31 offset0:40 offset1:41
	ds_read_b64 v[24:25], v17
	ds_read_b64 v[26:27], v18
	;; [unrolled: 1-line block ×3, first 2 shown]
	s_waitcnt lgkmcnt(4)
	v_mul_f32_e32 v23, v13, v21
	v_fmac_f32_e32 v23, v20, v12
	v_mul_f32_e32 v30, v22, v23
	s_waitcnt lgkmcnt(3)
	v_mul_f32_e32 v23, v9, v9
	v_fmac_f32_e32 v23, v8, v8
	v_div_scale_f32 v32, s[8:9], v23, v23, 1.0
	v_rcp_f32_e32 v33, v32
	v_mul_f32_e64 v13, v13, -v20
	v_fmac_f32_e32 v13, v21, v12
	v_mul_f32_e32 v12, v13, v22
	v_fma_f32 v13, -v32, v33, 1.0
	v_fmac_f32_e32 v33, v13, v33
	v_div_scale_f32 v13, vcc, 1.0, v23, 1.0
	v_mul_f32_e32 v20, v13, v33
	v_fma_f32 v21, -v32, v20, v13
	v_fmac_f32_e32 v20, v21, v33
	v_fma_f32 v13, -v32, v20, v13
	v_div_fmas_f32 v13, v13, v33, v20
	v_div_fixup_f32 v13, v13, v23, 1.0
	ds_read2st64_b64 v[20:23], v19 offset0:41 offset1:43
	s_waitcnt lgkmcnt(3)
	v_mul_f32_e32 v32, v9, v25
	v_mul_f32_e64 v9, v9, -v24
	v_fmac_f32_e32 v9, v25, v8
	v_fmac_f32_e32 v32, v24, v8
	v_mul_f32_e32 v34, v9, v13
	s_waitcnt lgkmcnt(0)
	v_pk_mul_f32 v[8:9], v[12:13], v[20:21] op_sel:[0,1] op_sel_hi:[0,0] neg_lo:[0,1]
	v_pk_fma_f32 v[8:9], v[20:21], v[30:31], v[8:9] op_sel_hi:[1,0,1]
	v_pk_add_f32 v[8:9], v[26:27], v[8:9] neg_lo:[0,1] neg_hi:[0,1]
	ds_read2st64_b64 v[24:27], v31 offset0:42 offset1:44
	v_mul_f32_e32 v32, v13, v32
	v_pk_mul_f32 v[20:21], v[34:35], v[6:7] op_sel:[0,1] op_sel_hi:[0,0] neg_lo:[0,1]
	v_pk_fma_f32 v[6:7], v[6:7], v[32:33], v[20:21] op_sel_hi:[1,0,1]
	v_pk_add_f32 v[6:7], v[8:9], v[6:7] neg_lo:[0,1] neg_hi:[0,1]
	v_pk_mul_f32 v[8:9], v[12:13], v[22:23] op_sel:[0,1] op_sel_hi:[0,0] neg_lo:[0,1]
	v_pk_fma_f32 v[8:9], v[22:23], v[30:31], v[8:9] op_sel_hi:[1,0,1]
	s_waitcnt lgkmcnt(0)
	v_pk_mul_f32 v[20:21], v[34:35], v[26:27] op_sel:[0,1] op_sel_hi:[0,0] neg_lo:[0,1]
	v_pk_mul_f32 v[12:13], v[12:13], v[10:11] op_sel:[0,1] op_sel_hi:[0,0] neg_hi:[0,1]
	v_pk_add_f32 v[8:9], v[28:29], v[8:9] neg_lo:[0,1] neg_hi:[0,1]
	v_pk_fma_f32 v[20:21], v[26:27], v[32:33], v[20:21] op_sel_hi:[1,0,1]
	v_pk_fma_f32 v[10:11], v[10:11], v[30:31], v[12:13] op_sel_hi:[1,0,1] neg_lo:[1,0,0] neg_hi:[1,0,0]
	v_pk_mul_f32 v[12:13], v[34:35], v[24:25] op_sel:[0,1] op_sel_hi:[0,0] neg_hi:[0,1]
	v_pk_add_f32 v[8:9], v[8:9], v[20:21] neg_lo:[0,1] neg_hi:[0,1]
	v_pk_fma_f32 v[12:13], v[24:25], v[32:33], v[12:13] op_sel_hi:[1,0,1] neg_lo:[1,0,0] neg_hi:[1,0,0]
.LBB50_14:
	s_or_b64 exec, exec, s[6:7]
	s_barrier
	s_and_saveexec_b64 s[6:7], s[4:5]
	s_cbranch_execz .LBB50_16
; %bb.15:
	ds_write_b64 v18, v[6:7]
	ds_write_b64 v15, v[8:9]
	;; [unrolled: 1-line block ×4, first 2 shown]
.LBB50_16:
	s_or_b64 exec, exec, s[6:7]
	s_waitcnt lgkmcnt(0)
	s_barrier
	s_and_saveexec_b64 s[6:7], s[4:5]
	s_cbranch_execz .LBB50_18
; %bb.17:
	v_max_u32_e32 v6, 4, v0
	v_lshlrev_b32_e32 v6, 3, v6
	v_add_u32_e32 v19, 0x1e0, v6
	ds_read2st64_b64 v[10:13], v19 offset0:39 offset1:40
	v_min_u32_e32 v6, 59, v0
	v_lshlrev_b32_e32 v6, 3, v6
	v_add_u32_e32 v31, 32, v6
	s_waitcnt lgkmcnt(0)
	v_mul_f32_e32 v7, v13, v13
	v_fmac_f32_e32 v7, v12, v12
	v_div_scale_f32 v8, s[8:9], v7, v7, 1.0
	v_rcp_f32_e32 v9, v8
	v_div_scale_f32 v6, vcc, 1.0, v7, 1.0
	v_fma_f32 v20, -v8, v9, 1.0
	v_fmac_f32_e32 v9, v20, v9
	v_mul_f32_e32 v20, v6, v9
	v_fma_f32 v21, -v8, v20, v6
	v_fmac_f32_e32 v20, v21, v9
	v_fma_f32 v6, -v8, v20, v6
	v_div_fmas_f32 v6, v6, v9, v20
	v_div_fixup_f32 v22, v6, v7, 1.0
	ds_read_b64 v[20:21], v16
	ds_read2st64_b64 v[6:9], v31 offset0:40 offset1:41
	ds_read_b64 v[24:25], v17
	ds_read_b64 v[26:27], v18
	;; [unrolled: 1-line block ×3, first 2 shown]
	s_waitcnt lgkmcnt(4)
	v_mul_f32_e32 v23, v13, v21
	v_fmac_f32_e32 v23, v20, v12
	v_mul_f32_e32 v30, v22, v23
	s_waitcnt lgkmcnt(3)
	v_mul_f32_e32 v23, v9, v9
	v_fmac_f32_e32 v23, v8, v8
	v_div_scale_f32 v32, s[8:9], v23, v23, 1.0
	v_rcp_f32_e32 v33, v32
	v_mul_f32_e64 v13, v13, -v20
	v_fmac_f32_e32 v13, v21, v12
	v_mul_f32_e32 v12, v13, v22
	v_fma_f32 v13, -v32, v33, 1.0
	v_fmac_f32_e32 v33, v13, v33
	v_div_scale_f32 v13, vcc, 1.0, v23, 1.0
	v_mul_f32_e32 v20, v13, v33
	v_fma_f32 v21, -v32, v20, v13
	v_fmac_f32_e32 v20, v21, v33
	v_fma_f32 v13, -v32, v20, v13
	v_div_fmas_f32 v13, v13, v33, v20
	v_div_fixup_f32 v13, v13, v23, 1.0
	ds_read2st64_b64 v[20:23], v19 offset0:41 offset1:43
	s_waitcnt lgkmcnt(3)
	v_mul_f32_e32 v32, v9, v25
	v_mul_f32_e64 v9, v9, -v24
	v_fmac_f32_e32 v9, v25, v8
	v_fmac_f32_e32 v32, v24, v8
	v_mul_f32_e32 v34, v9, v13
	s_waitcnt lgkmcnt(0)
	v_pk_mul_f32 v[8:9], v[12:13], v[20:21] op_sel:[0,1] op_sel_hi:[0,0] neg_lo:[0,1]
	v_pk_fma_f32 v[8:9], v[20:21], v[30:31], v[8:9] op_sel_hi:[1,0,1]
	v_pk_add_f32 v[8:9], v[26:27], v[8:9] neg_lo:[0,1] neg_hi:[0,1]
	ds_read2st64_b64 v[24:27], v31 offset0:42 offset1:44
	v_mul_f32_e32 v32, v13, v32
	v_pk_mul_f32 v[20:21], v[34:35], v[6:7] op_sel:[0,1] op_sel_hi:[0,0] neg_lo:[0,1]
	v_pk_fma_f32 v[6:7], v[6:7], v[32:33], v[20:21] op_sel_hi:[1,0,1]
	v_pk_add_f32 v[6:7], v[8:9], v[6:7] neg_lo:[0,1] neg_hi:[0,1]
	v_pk_mul_f32 v[8:9], v[12:13], v[22:23] op_sel:[0,1] op_sel_hi:[0,0] neg_lo:[0,1]
	v_pk_fma_f32 v[8:9], v[22:23], v[30:31], v[8:9] op_sel_hi:[1,0,1]
	s_waitcnt lgkmcnt(0)
	v_pk_mul_f32 v[20:21], v[34:35], v[26:27] op_sel:[0,1] op_sel_hi:[0,0] neg_lo:[0,1]
	v_pk_mul_f32 v[12:13], v[12:13], v[10:11] op_sel:[0,1] op_sel_hi:[0,0] neg_hi:[0,1]
	v_pk_add_f32 v[8:9], v[28:29], v[8:9] neg_lo:[0,1] neg_hi:[0,1]
	v_pk_fma_f32 v[20:21], v[26:27], v[32:33], v[20:21] op_sel_hi:[1,0,1]
	v_pk_fma_f32 v[10:11], v[10:11], v[30:31], v[12:13] op_sel_hi:[1,0,1] neg_lo:[1,0,0] neg_hi:[1,0,0]
	v_pk_mul_f32 v[12:13], v[34:35], v[24:25] op_sel:[0,1] op_sel_hi:[0,0] neg_hi:[0,1]
	v_pk_add_f32 v[8:9], v[8:9], v[20:21] neg_lo:[0,1] neg_hi:[0,1]
	v_pk_fma_f32 v[12:13], v[24:25], v[32:33], v[12:13] op_sel_hi:[1,0,1] neg_lo:[1,0,0] neg_hi:[1,0,0]
.LBB50_18:
	s_or_b64 exec, exec, s[6:7]
	s_barrier
	s_and_saveexec_b64 s[6:7], s[4:5]
	s_cbranch_execz .LBB50_20
; %bb.19:
	ds_write_b64 v18, v[6:7]
	ds_write_b64 v15, v[8:9]
	;; [unrolled: 1-line block ×4, first 2 shown]
.LBB50_20:
	s_or_b64 exec, exec, s[6:7]
	s_waitcnt lgkmcnt(0)
	s_barrier
	s_and_saveexec_b64 s[6:7], s[4:5]
	s_cbranch_execz .LBB50_22
; %bb.21:
	v_max_u32_e32 v6, 8, v0
	v_lshlrev_b32_e32 v6, 3, v6
	v_add_u32_e32 v19, 0x1c0, v6
	ds_read2st64_b64 v[10:13], v19 offset0:39 offset1:40
	v_min_u32_e32 v6, 55, v0
	v_lshlrev_b32_e32 v6, 3, v6
	v_add_u32_e32 v31, 64, v6
	s_waitcnt lgkmcnt(0)
	v_mul_f32_e32 v7, v13, v13
	v_fmac_f32_e32 v7, v12, v12
	v_div_scale_f32 v8, s[8:9], v7, v7, 1.0
	v_rcp_f32_e32 v9, v8
	v_div_scale_f32 v6, vcc, 1.0, v7, 1.0
	v_fma_f32 v20, -v8, v9, 1.0
	v_fmac_f32_e32 v9, v20, v9
	v_mul_f32_e32 v20, v6, v9
	v_fma_f32 v21, -v8, v20, v6
	v_fmac_f32_e32 v20, v21, v9
	v_fma_f32 v6, -v8, v20, v6
	v_div_fmas_f32 v6, v6, v9, v20
	v_div_fixup_f32 v22, v6, v7, 1.0
	ds_read_b64 v[20:21], v16
	ds_read2st64_b64 v[6:9], v31 offset0:40 offset1:41
	ds_read_b64 v[24:25], v17
	ds_read_b64 v[26:27], v18
	;; [unrolled: 1-line block ×3, first 2 shown]
	s_waitcnt lgkmcnt(4)
	v_mul_f32_e32 v23, v13, v21
	v_fmac_f32_e32 v23, v20, v12
	v_mul_f32_e32 v30, v22, v23
	s_waitcnt lgkmcnt(3)
	v_mul_f32_e32 v23, v9, v9
	v_fmac_f32_e32 v23, v8, v8
	v_div_scale_f32 v32, s[8:9], v23, v23, 1.0
	v_rcp_f32_e32 v33, v32
	v_mul_f32_e64 v13, v13, -v20
	v_fmac_f32_e32 v13, v21, v12
	v_mul_f32_e32 v12, v13, v22
	v_fma_f32 v13, -v32, v33, 1.0
	v_fmac_f32_e32 v33, v13, v33
	v_div_scale_f32 v13, vcc, 1.0, v23, 1.0
	v_mul_f32_e32 v20, v13, v33
	v_fma_f32 v21, -v32, v20, v13
	v_fmac_f32_e32 v20, v21, v33
	v_fma_f32 v13, -v32, v20, v13
	v_div_fmas_f32 v13, v13, v33, v20
	v_div_fixup_f32 v13, v13, v23, 1.0
	ds_read2st64_b64 v[20:23], v19 offset0:41 offset1:43
	s_waitcnt lgkmcnt(3)
	v_mul_f32_e32 v32, v9, v25
	v_mul_f32_e64 v9, v9, -v24
	v_fmac_f32_e32 v9, v25, v8
	v_fmac_f32_e32 v32, v24, v8
	v_mul_f32_e32 v34, v9, v13
	s_waitcnt lgkmcnt(0)
	v_pk_mul_f32 v[8:9], v[12:13], v[20:21] op_sel:[0,1] op_sel_hi:[0,0] neg_lo:[0,1]
	v_pk_fma_f32 v[8:9], v[20:21], v[30:31], v[8:9] op_sel_hi:[1,0,1]
	v_pk_add_f32 v[8:9], v[26:27], v[8:9] neg_lo:[0,1] neg_hi:[0,1]
	ds_read2st64_b64 v[24:27], v31 offset0:42 offset1:44
	v_mul_f32_e32 v32, v13, v32
	v_pk_mul_f32 v[20:21], v[34:35], v[6:7] op_sel:[0,1] op_sel_hi:[0,0] neg_lo:[0,1]
	v_pk_fma_f32 v[6:7], v[6:7], v[32:33], v[20:21] op_sel_hi:[1,0,1]
	v_pk_add_f32 v[6:7], v[8:9], v[6:7] neg_lo:[0,1] neg_hi:[0,1]
	v_pk_mul_f32 v[8:9], v[12:13], v[22:23] op_sel:[0,1] op_sel_hi:[0,0] neg_lo:[0,1]
	v_pk_fma_f32 v[8:9], v[22:23], v[30:31], v[8:9] op_sel_hi:[1,0,1]
	s_waitcnt lgkmcnt(0)
	v_pk_mul_f32 v[20:21], v[34:35], v[26:27] op_sel:[0,1] op_sel_hi:[0,0] neg_lo:[0,1]
	v_pk_mul_f32 v[12:13], v[12:13], v[10:11] op_sel:[0,1] op_sel_hi:[0,0] neg_hi:[0,1]
	v_pk_add_f32 v[8:9], v[28:29], v[8:9] neg_lo:[0,1] neg_hi:[0,1]
	v_pk_fma_f32 v[20:21], v[26:27], v[32:33], v[20:21] op_sel_hi:[1,0,1]
	v_pk_fma_f32 v[10:11], v[10:11], v[30:31], v[12:13] op_sel_hi:[1,0,1] neg_lo:[1,0,0] neg_hi:[1,0,0]
	v_pk_mul_f32 v[12:13], v[34:35], v[24:25] op_sel:[0,1] op_sel_hi:[0,0] neg_hi:[0,1]
	v_pk_add_f32 v[8:9], v[8:9], v[20:21] neg_lo:[0,1] neg_hi:[0,1]
	v_pk_fma_f32 v[12:13], v[24:25], v[32:33], v[12:13] op_sel_hi:[1,0,1] neg_lo:[1,0,0] neg_hi:[1,0,0]
.LBB50_22:
	s_or_b64 exec, exec, s[6:7]
	s_barrier
	s_and_saveexec_b64 s[6:7], s[4:5]
	s_cbranch_execz .LBB50_24
; %bb.23:
	ds_write_b64 v18, v[6:7]
	ds_write_b64 v15, v[8:9]
	;; [unrolled: 1-line block ×4, first 2 shown]
.LBB50_24:
	s_or_b64 exec, exec, s[6:7]
	s_waitcnt lgkmcnt(0)
	s_barrier
	s_and_saveexec_b64 s[6:7], s[4:5]
	s_cbranch_execz .LBB50_26
; %bb.25:
	v_max_u32_e32 v6, 16, v0
	v_lshlrev_b32_e32 v6, 3, v6
	v_add_u32_e32 v19, 0x180, v6
	ds_read2st64_b64 v[10:13], v19 offset0:39 offset1:40
	v_min_u32_e32 v6, 47, v0
	v_lshlrev_b32_e32 v6, 3, v6
	v_add_u32_e32 v31, 0x80, v6
	s_waitcnt lgkmcnt(0)
	v_mul_f32_e32 v7, v13, v13
	v_fmac_f32_e32 v7, v12, v12
	v_div_scale_f32 v8, s[8:9], v7, v7, 1.0
	v_rcp_f32_e32 v9, v8
	v_div_scale_f32 v6, vcc, 1.0, v7, 1.0
	v_fma_f32 v20, -v8, v9, 1.0
	v_fmac_f32_e32 v9, v20, v9
	v_mul_f32_e32 v20, v6, v9
	v_fma_f32 v21, -v8, v20, v6
	v_fmac_f32_e32 v20, v21, v9
	v_fma_f32 v6, -v8, v20, v6
	v_div_fmas_f32 v6, v6, v9, v20
	v_div_fixup_f32 v22, v6, v7, 1.0
	ds_read_b64 v[20:21], v16
	ds_read2st64_b64 v[6:9], v31 offset0:40 offset1:41
	ds_read_b64 v[24:25], v17
	ds_read_b64 v[26:27], v18
	;; [unrolled: 1-line block ×3, first 2 shown]
	s_waitcnt lgkmcnt(4)
	v_mul_f32_e32 v23, v13, v21
	v_fmac_f32_e32 v23, v20, v12
	v_mul_f32_e32 v30, v22, v23
	s_waitcnt lgkmcnt(3)
	v_mul_f32_e32 v23, v9, v9
	v_fmac_f32_e32 v23, v8, v8
	v_div_scale_f32 v32, s[8:9], v23, v23, 1.0
	v_rcp_f32_e32 v33, v32
	v_mul_f32_e64 v13, v13, -v20
	v_fmac_f32_e32 v13, v21, v12
	v_mul_f32_e32 v12, v13, v22
	v_fma_f32 v13, -v32, v33, 1.0
	v_fmac_f32_e32 v33, v13, v33
	v_div_scale_f32 v13, vcc, 1.0, v23, 1.0
	v_mul_f32_e32 v20, v13, v33
	v_fma_f32 v21, -v32, v20, v13
	v_fmac_f32_e32 v20, v21, v33
	v_fma_f32 v13, -v32, v20, v13
	v_div_fmas_f32 v13, v13, v33, v20
	v_div_fixup_f32 v13, v13, v23, 1.0
	ds_read2st64_b64 v[20:23], v19 offset0:41 offset1:43
	s_waitcnt lgkmcnt(3)
	v_mul_f32_e32 v32, v9, v25
	v_mul_f32_e64 v9, v9, -v24
	v_fmac_f32_e32 v9, v25, v8
	v_fmac_f32_e32 v32, v24, v8
	v_mul_f32_e32 v34, v9, v13
	s_waitcnt lgkmcnt(0)
	v_pk_mul_f32 v[8:9], v[12:13], v[20:21] op_sel:[0,1] op_sel_hi:[0,0] neg_lo:[0,1]
	v_pk_fma_f32 v[8:9], v[20:21], v[30:31], v[8:9] op_sel_hi:[1,0,1]
	v_pk_add_f32 v[8:9], v[26:27], v[8:9] neg_lo:[0,1] neg_hi:[0,1]
	ds_read2st64_b64 v[24:27], v31 offset0:42 offset1:44
	v_mul_f32_e32 v32, v13, v32
	v_pk_mul_f32 v[20:21], v[34:35], v[6:7] op_sel:[0,1] op_sel_hi:[0,0] neg_lo:[0,1]
	v_pk_fma_f32 v[6:7], v[6:7], v[32:33], v[20:21] op_sel_hi:[1,0,1]
	v_pk_add_f32 v[6:7], v[8:9], v[6:7] neg_lo:[0,1] neg_hi:[0,1]
	v_pk_mul_f32 v[8:9], v[12:13], v[22:23] op_sel:[0,1] op_sel_hi:[0,0] neg_lo:[0,1]
	v_pk_fma_f32 v[8:9], v[22:23], v[30:31], v[8:9] op_sel_hi:[1,0,1]
	s_waitcnt lgkmcnt(0)
	v_pk_mul_f32 v[20:21], v[34:35], v[26:27] op_sel:[0,1] op_sel_hi:[0,0] neg_lo:[0,1]
	v_pk_mul_f32 v[12:13], v[12:13], v[10:11] op_sel:[0,1] op_sel_hi:[0,0] neg_hi:[0,1]
	v_pk_add_f32 v[8:9], v[28:29], v[8:9] neg_lo:[0,1] neg_hi:[0,1]
	v_pk_fma_f32 v[20:21], v[26:27], v[32:33], v[20:21] op_sel_hi:[1,0,1]
	v_pk_fma_f32 v[10:11], v[10:11], v[30:31], v[12:13] op_sel_hi:[1,0,1] neg_lo:[1,0,0] neg_hi:[1,0,0]
	v_pk_mul_f32 v[12:13], v[34:35], v[24:25] op_sel:[0,1] op_sel_hi:[0,0] neg_hi:[0,1]
	v_pk_add_f32 v[8:9], v[8:9], v[20:21] neg_lo:[0,1] neg_hi:[0,1]
	v_pk_fma_f32 v[12:13], v[24:25], v[32:33], v[12:13] op_sel_hi:[1,0,1] neg_lo:[1,0,0] neg_hi:[1,0,0]
.LBB50_26:
	s_or_b64 exec, exec, s[6:7]
	s_barrier
	s_and_saveexec_b64 s[6:7], s[4:5]
	s_cbranch_execz .LBB50_28
; %bb.27:
	ds_write_b64 v18, v[6:7]
	ds_write_b64 v15, v[8:9]
	;; [unrolled: 1-line block ×4, first 2 shown]
.LBB50_28:
	s_or_b64 exec, exec, s[6:7]
	v_cmp_gt_u32_e32 vcc, 32, v0
	s_waitcnt lgkmcnt(0)
	s_barrier
	s_and_saveexec_b64 s[6:7], vcc
	s_cbranch_execz .LBB50_30
; %bb.29:
	ds_read2_b64 v[6:9], v18 offset1:32
	ds_read_b64 v[18:19], v17
	ds_read_b64 v[16:17], v16 offset:256
	s_waitcnt lgkmcnt(2)
	v_pk_mul_f32 v[10:11], v[6:7], v[8:9] op_sel:[1,1] op_sel_hi:[1,0] neg_lo:[0,1]
	v_pk_fma_f32 v[10:11], v[8:9], v[6:7], v[10:11] op_sel_hi:[1,0,1]
	s_waitcnt lgkmcnt(0)
	v_pk_mul_f32 v[12:13], v[16:17], v[18:19] op_sel:[1,1] op_sel_hi:[1,0] neg_lo:[0,1]
	v_pk_fma_f32 v[12:13], v[18:19], v[16:17], v[12:13] op_sel_hi:[1,0,1]
	v_pk_add_f32 v[20:21], v[10:11], v[12:13] neg_lo:[0,1] neg_hi:[0,1]
	v_mul_f32_e32 v22, v21, v21
	v_fmac_f32_e32 v22, v20, v20
	v_div_scale_f32 v23, s[8:9], v22, v22, 1.0
	v_rcp_f32_e32 v24, v23
	ds_read2_b64 v[10:13], v15 offset1:32
	v_fma_f32 v15, -v23, v24, 1.0
	v_fmac_f32_e32 v24, v15, v24
	v_div_scale_f32 v15, vcc, 1.0, v22, 1.0
	v_mul_f32_e32 v25, v15, v24
	v_fma_f32 v26, -v23, v25, v15
	v_fmac_f32_e32 v25, v26, v24
	v_fma_f32 v15, -v23, v25, v15
	v_div_fmas_f32 v15, v15, v24, v25
	s_waitcnt lgkmcnt(0)
	v_pk_mul_f32 v[24:25], v[10:11], v[8:9] op_sel:[1,1] op_sel_hi:[1,0] neg_lo:[0,1]
	v_pk_fma_f32 v[8:9], v[8:9], v[10:11], v[24:25] op_sel_hi:[1,0,1]
	v_pk_mul_f32 v[24:25], v[12:13], v[18:19] op_sel:[1,1] op_sel_hi:[1,0] neg_lo:[0,1]
	v_div_fixup_f32 v15, v15, v22, 1.0
	v_fma_f32 v22, 0, v21, v20
	v_fma_f32 v20, v20, 0, -v21
	v_pk_fma_f32 v[18:19], v[18:19], v[12:13], v[24:25] op_sel_hi:[1,0,1]
	v_mul_f32_e32 v20, v20, v15
	v_pk_add_f32 v[8:9], v[8:9], v[18:19] neg_lo:[0,1] neg_hi:[0,1]
	v_mul_f32_e32 v22, v22, v15
	v_pk_mul_f32 v[18:19], v[20:21], v[8:9] op_sel:[0,1] op_sel_hi:[0,0] neg_lo:[0,1]
	v_pk_fma_f32 v[8:9], v[8:9], v[22:23], v[18:19] op_sel_hi:[1,0,1]
	v_pk_mul_f32 v[18:19], v[6:7], v[12:13] op_sel:[1,1] op_sel_hi:[1,0] neg_lo:[0,1]
	v_pk_fma_f32 v[6:7], v[12:13], v[6:7], v[18:19] op_sel_hi:[1,0,1]
	;; [unrolled: 2-line block ×3, first 2 shown]
	v_pk_add_f32 v[6:7], v[6:7], v[10:11] neg_lo:[0,1] neg_hi:[0,1]
	v_pk_mul_f32 v[10:11], v[20:21], v[6:7] op_sel:[0,1] op_sel_hi:[0,0] neg_lo:[0,1]
	v_pk_fma_f32 v[6:7], v[6:7], v[22:23], v[10:11] op_sel_hi:[1,0,1]
	v_add_u32_e32 v10, 0x5000, v14
	ds_write2_b64 v10, v[8:9], v[6:7] offset0:192 offset1:224
.LBB50_30:
	s_or_b64 exec, exec, s[6:7]
	s_waitcnt lgkmcnt(0)
	s_barrier
	s_and_saveexec_b64 s[6:7], s[4:5]
	s_cbranch_execz .LBB50_32
; %bb.31:
	ds_read_b64 v[6:7], v14 offset:22016
	s_waitcnt lgkmcnt(0)
	ds_write_b64 v1, v[6:7] offset:12280
.LBB50_32:
	s_or_b64 exec, exec, s[6:7]
	s_waitcnt lgkmcnt(0)
	s_barrier
	s_and_saveexec_b64 s[6:7], s[4:5]
	s_cbranch_execz .LBB50_38
; %bb.33:
	v_cmp_ne_u32_e32 vcc, 0, v0
	v_lshlrev_b32_e32 v1, 3, v14
                                        ; implicit-def: $vgpr6_vgpr7
	s_and_saveexec_b64 s[4:5], vcc
	s_xor_b64 s[4:5], exec, s[4:5]
	s_cbranch_execz .LBB50_35
; %bb.34:
	v_add_u32_e32 v6, 24, v1
	ds_read2st64_b64 v[6:9], v6 offset1:8
	v_add_u32_e32 v10, 0x2c00, v1
	ds_read_b64 v[16:17], v1 offset:16408
	ds_read_b64 v[18:19], v1 offset:8216
	ds_read2_b64 v[10:13], v10 offset0:127 offset1:135
	s_waitcnt lgkmcnt(3)
	v_mul_f32_e32 v15, v9, v9
	v_fmac_f32_e32 v15, v8, v8
	v_div_scale_f32 v20, s[8:9], v15, v15, 1.0
	v_rcp_f32_e32 v21, v20
	v_div_scale_f32 v22, vcc, 1.0, v15, 1.0
	v_fma_f32 v23, -v20, v21, 1.0
	v_fmac_f32_e32 v21, v23, v21
	v_mul_f32_e32 v23, v22, v21
	v_fma_f32 v24, -v20, v23, v22
	v_fmac_f32_e32 v23, v24, v21
	v_fma_f32 v20, -v20, v23, v22
	v_div_fmas_f32 v20, v20, v21, v23
	s_waitcnt lgkmcnt(0)
	v_pk_mul_f32 v[22:23], v[10:11], v[6:7] op_sel:[1,1] op_sel_hi:[1,0] neg_lo:[0,1]
	v_pk_fma_f32 v[6:7], v[6:7], v[10:11], v[22:23] op_sel_hi:[1,0,1]
	v_pk_mul_f32 v[10:11], v[12:13], v[18:19] op_sel:[1,1] op_sel_hi:[1,0] neg_lo:[0,1]
	v_pk_add_f32 v[6:7], v[16:17], v[6:7] neg_lo:[0,1] neg_hi:[0,1]
	v_pk_fma_f32 v[10:11], v[18:19], v[12:13], v[10:11] op_sel_hi:[1,0,1]
	v_pk_add_f32 v[6:7], v[6:7], v[10:11] neg_lo:[0,1] neg_hi:[0,1]
	v_pk_mul_f32 v[10:11], v[8:9], v[6:7] op_sel:[1,1] op_sel_hi:[1,0] neg_hi:[0,1]
	v_div_fixup_f32 v20, v20, v15, 1.0
	v_pk_fma_f32 v[6:7], v[6:7], v[8:9], v[10:11] op_sel_hi:[1,0,1]
	v_pk_mul_f32 v[6:7], v[20:21], v[6:7] op_sel_hi:[0,1]
.LBB50_35:
	s_andn2_saveexec_b64 s[4:5], s[4:5]
	s_cbranch_execz .LBB50_37
; %bb.36:
	v_add_u32_e32 v6, 24, v1
	ds_read2st64_b64 v[6:9], v6 offset0:8 offset1:16
	ds_read_b64 v[10:11], v1 offset:12344
	ds_read_b64 v[12:13], v1 offset:16408
	s_waitcnt lgkmcnt(2)
	v_mul_f32_e32 v15, v7, v7
	v_fmac_f32_e32 v15, v6, v6
	v_div_scale_f32 v18, s[8:9], v15, v15, 1.0
	v_rcp_f32_e32 v19, v18
	v_div_scale_f32 v20, vcc, 1.0, v15, 1.0
	s_waitcnt lgkmcnt(1)
	v_pk_mul_f32 v[16:17], v[10:11], v[8:9] op_sel:[1,1] op_sel_hi:[1,0] neg_lo:[0,1]
	v_fma_f32 v21, -v18, v19, 1.0
	v_fmac_f32_e32 v19, v21, v19
	v_mul_f32_e32 v21, v20, v19
	v_fma_f32 v22, -v18, v21, v20
	v_fmac_f32_e32 v21, v22, v19
	v_pk_fma_f32 v[8:9], v[8:9], v[10:11], v[16:17] op_sel_hi:[1,0,1]
	v_fma_f32 v18, -v18, v21, v20
	s_waitcnt lgkmcnt(0)
	v_pk_add_f32 v[8:9], v[12:13], v[8:9] neg_lo:[0,1] neg_hi:[0,1]
	v_div_fmas_f32 v18, v18, v19, v21
	v_pk_mul_f32 v[10:11], v[6:7], v[8:9] op_sel:[1,1] op_sel_hi:[1,0] neg_hi:[0,1]
	v_div_fixup_f32 v18, v18, v15, 1.0
	v_pk_fma_f32 v[6:7], v[8:9], v[6:7], v[10:11] op_sel_hi:[1,0,1]
	v_pk_mul_f32 v[6:7], v[18:19], v[6:7] op_sel_hi:[0,1]
.LBB50_37:
	s_or_b64 exec, exec, s[4:5]
	ds_write_b64 v1, v[6:7] offset:12312
.LBB50_38:
	s_or_b64 exec, exec, s[6:7]
	s_waitcnt lgkmcnt(0)
	s_barrier
	s_and_saveexec_b64 s[4:5], s[2:3]
	s_cbranch_execz .LBB50_44
; %bb.39:
	v_lshlrev_b32_e32 v1, 2, v0
	v_cmp_ne_u32_e32 vcc, 0, v0
	v_lshlrev_b32_e32 v1, 3, v1
                                        ; implicit-def: $vgpr6_vgpr7
	s_and_saveexec_b64 s[2:3], vcc
	s_xor_b64 s[2:3], exec, s[2:3]
	s_cbranch_execz .LBB50_41
; %bb.40:
	v_add_u32_e32 v6, 8, v1
	ds_read2st64_b64 v[6:9], v6 offset1:8
	v_add_u32_e32 v10, 0x2c00, v1
	ds_read_b64 v[16:17], v1 offset:16392
	ds_read_b64 v[18:19], v1 offset:8200
	ds_read2_b64 v[10:13], v10 offset0:127 offset1:131
	s_waitcnt lgkmcnt(3)
	v_mul_f32_e32 v15, v9, v9
	v_fmac_f32_e32 v15, v8, v8
	v_div_scale_f32 v20, s[6:7], v15, v15, 1.0
	v_rcp_f32_e32 v21, v20
	v_div_scale_f32 v22, vcc, 1.0, v15, 1.0
	v_fma_f32 v23, -v20, v21, 1.0
	v_fmac_f32_e32 v21, v23, v21
	v_mul_f32_e32 v23, v22, v21
	v_fma_f32 v24, -v20, v23, v22
	v_fmac_f32_e32 v23, v24, v21
	v_fma_f32 v20, -v20, v23, v22
	v_div_fmas_f32 v20, v20, v21, v23
	s_waitcnt lgkmcnt(0)
	v_pk_mul_f32 v[22:23], v[10:11], v[6:7] op_sel:[1,1] op_sel_hi:[1,0] neg_lo:[0,1]
	v_pk_fma_f32 v[6:7], v[6:7], v[10:11], v[22:23] op_sel_hi:[1,0,1]
	v_pk_mul_f32 v[10:11], v[12:13], v[18:19] op_sel:[1,1] op_sel_hi:[1,0] neg_lo:[0,1]
	v_pk_add_f32 v[6:7], v[16:17], v[6:7] neg_lo:[0,1] neg_hi:[0,1]
	v_pk_fma_f32 v[10:11], v[18:19], v[12:13], v[10:11] op_sel_hi:[1,0,1]
	v_pk_add_f32 v[6:7], v[6:7], v[10:11] neg_lo:[0,1] neg_hi:[0,1]
	v_pk_mul_f32 v[10:11], v[8:9], v[6:7] op_sel:[1,1] op_sel_hi:[1,0] neg_hi:[0,1]
	v_div_fixup_f32 v20, v20, v15, 1.0
	v_pk_fma_f32 v[6:7], v[6:7], v[8:9], v[10:11] op_sel_hi:[1,0,1]
	v_pk_mul_f32 v[6:7], v[20:21], v[6:7] op_sel_hi:[0,1]
.LBB50_41:
	s_andn2_saveexec_b64 s[2:3], s[2:3]
	s_cbranch_execz .LBB50_43
; %bb.42:
	v_add_u32_e32 v6, 8, v1
	ds_read2st64_b64 v[6:9], v6 offset0:8 offset1:16
	ds_read_b64 v[10:11], v1 offset:12312
	ds_read_b64 v[12:13], v1 offset:16392
	s_waitcnt lgkmcnt(2)
	v_mul_f32_e32 v15, v7, v7
	v_fmac_f32_e32 v15, v6, v6
	v_div_scale_f32 v18, s[6:7], v15, v15, 1.0
	v_rcp_f32_e32 v19, v18
	v_div_scale_f32 v20, vcc, 1.0, v15, 1.0
	s_waitcnt lgkmcnt(1)
	v_pk_mul_f32 v[16:17], v[10:11], v[8:9] op_sel:[1,1] op_sel_hi:[1,0] neg_lo:[0,1]
	v_fma_f32 v21, -v18, v19, 1.0
	v_fmac_f32_e32 v19, v21, v19
	v_mul_f32_e32 v21, v20, v19
	v_fma_f32 v22, -v18, v21, v20
	v_fmac_f32_e32 v21, v22, v19
	v_pk_fma_f32 v[8:9], v[8:9], v[10:11], v[16:17] op_sel_hi:[1,0,1]
	v_fma_f32 v18, -v18, v21, v20
	s_waitcnt lgkmcnt(0)
	v_pk_add_f32 v[8:9], v[12:13], v[8:9] neg_lo:[0,1] neg_hi:[0,1]
	v_div_fmas_f32 v18, v18, v19, v21
	v_pk_mul_f32 v[10:11], v[6:7], v[8:9] op_sel:[1,1] op_sel_hi:[1,0] neg_hi:[0,1]
	v_div_fixup_f32 v18, v18, v15, 1.0
	v_pk_fma_f32 v[6:7], v[8:9], v[6:7], v[10:11] op_sel_hi:[1,0,1]
	v_pk_mul_f32 v[6:7], v[18:19], v[6:7] op_sel_hi:[0,1]
.LBB50_43:
	s_or_b64 exec, exec, s[2:3]
	ds_write_b64 v1, v[6:7] offset:12296
.LBB50_44:
	s_or_b64 exec, exec, s[4:5]
	s_waitcnt lgkmcnt(0)
	s_barrier
	s_and_saveexec_b64 s[2:3], s[0:1]
	s_cbranch_execz .LBB50_50
; %bb.45:
	v_lshlrev_b32_e32 v1, 1, v0
	v_cmp_ne_u32_e32 vcc, 0, v0
	v_lshlrev_b32_e32 v6, 3, v1
                                        ; implicit-def: $vgpr0_vgpr1
	s_and_saveexec_b64 s[0:1], vcc
	s_xor_b64 s[0:1], exec, s[0:1]
	s_cbranch_execz .LBB50_47
; %bb.46:
	ds_read2st64_b64 v[8:11], v6 offset1:8
	v_add_u32_e32 v7, 0x2c00, v6
	ds_read_b64 v[0:1], v6 offset:16384
	ds_read_b64 v[12:13], v6 offset:8192
	ds_read2_b64 v[16:19], v7 offset0:127 offset1:129
	s_waitcnt lgkmcnt(3)
	v_mul_f32_e32 v15, v11, v11
	v_fmac_f32_e32 v15, v10, v10
	v_div_scale_f32 v20, s[4:5], v15, v15, 1.0
	v_rcp_f32_e32 v21, v20
	v_div_scale_f32 v7, vcc, 1.0, v15, 1.0
	v_fma_f32 v22, -v20, v21, 1.0
	v_fmac_f32_e32 v21, v22, v21
	v_mul_f32_e32 v22, v7, v21
	v_fma_f32 v23, -v20, v22, v7
	v_fmac_f32_e32 v22, v23, v21
	v_fma_f32 v7, -v20, v22, v7
	v_div_fmas_f32 v7, v7, v21, v22
	s_waitcnt lgkmcnt(0)
	v_pk_mul_f32 v[22:23], v[16:17], v[8:9] op_sel:[1,1] op_sel_hi:[1,0] neg_lo:[0,1]
	v_pk_fma_f32 v[8:9], v[8:9], v[16:17], v[22:23] op_sel_hi:[1,0,1]
	v_pk_add_f32 v[0:1], v[0:1], v[8:9] neg_lo:[0,1] neg_hi:[0,1]
	v_pk_mul_f32 v[8:9], v[18:19], v[12:13] op_sel:[1,1] op_sel_hi:[1,0] neg_lo:[0,1]
	v_pk_fma_f32 v[8:9], v[12:13], v[18:19], v[8:9] op_sel_hi:[1,0,1]
	v_pk_add_f32 v[0:1], v[0:1], v[8:9] neg_lo:[0,1] neg_hi:[0,1]
	v_pk_mul_f32 v[8:9], v[10:11], v[0:1] op_sel:[1,1] op_sel_hi:[1,0] neg_hi:[0,1]
	v_div_fixup_f32 v20, v7, v15, 1.0
	v_pk_fma_f32 v[0:1], v[0:1], v[10:11], v[8:9] op_sel_hi:[1,0,1]
	v_pk_mul_f32 v[0:1], v[20:21], v[0:1] op_sel_hi:[0,1]
.LBB50_47:
	s_andn2_saveexec_b64 s[0:1], s[0:1]
	s_cbranch_execz .LBB50_49
; %bb.48:
	ds_read2st64_b64 v[8:11], v6 offset0:8 offset1:16
	ds_read_b64 v[0:1], v6 offset:12296
	ds_read_b64 v[12:13], v6 offset:16384
	s_waitcnt lgkmcnt(2)
	v_mul_f32_e32 v7, v9, v9
	v_fmac_f32_e32 v7, v8, v8
	v_div_scale_f32 v15, s[4:5], v7, v7, 1.0
	v_rcp_f32_e32 v18, v15
	v_div_scale_f32 v19, vcc, 1.0, v7, 1.0
	s_waitcnt lgkmcnt(1)
	v_pk_mul_f32 v[16:17], v[0:1], v[10:11] op_sel:[1,1] op_sel_hi:[1,0] neg_lo:[0,1]
	v_fma_f32 v20, -v15, v18, 1.0
	v_fmac_f32_e32 v18, v20, v18
	v_mul_f32_e32 v20, v19, v18
	v_fma_f32 v21, -v15, v20, v19
	v_fmac_f32_e32 v20, v21, v18
	v_pk_fma_f32 v[0:1], v[10:11], v[0:1], v[16:17] op_sel_hi:[1,0,1]
	v_fma_f32 v15, -v15, v20, v19
	s_waitcnt lgkmcnt(0)
	v_pk_add_f32 v[0:1], v[12:13], v[0:1] neg_lo:[0,1] neg_hi:[0,1]
	v_div_fmas_f32 v15, v15, v18, v20
	v_pk_mul_f32 v[10:11], v[8:9], v[0:1] op_sel:[1,1] op_sel_hi:[1,0] neg_hi:[0,1]
	v_div_fixup_f32 v18, v15, v7, 1.0
	v_pk_fma_f32 v[0:1], v[0:1], v[8:9], v[10:11] op_sel_hi:[1,0,1]
	v_pk_mul_f32 v[0:1], v[18:19], v[0:1] op_sel_hi:[0,1]
.LBB50_49:
	s_or_b64 exec, exec, s[0:1]
	ds_write_b64 v6, v[0:1] offset:12288
.LBB50_50:
	s_or_b64 exec, exec, s[2:3]
	s_waitcnt lgkmcnt(0)
	s_barrier
	ds_read2st64_b64 v[6:9], v14 offset0:24 offset1:28
	s_waitcnt lgkmcnt(0)
	global_store_dwordx2 v[2:3], v[6:7], off
	global_store_dwordx2 v[4:5], v[8:9], off
	s_endpgm
	.section	.rodata,"a",@progbits
	.p2align	6, 0x0
	.amdhsa_kernel _ZN9rocsparseL51gtsv_nopivot_strided_batch_crpcr_pow2_shared_kernelILj256ELj64E21rocsparse_complex_numIfEEEviiiPKT1_S5_S5_PS3_
		.amdhsa_group_segment_fixed_size 23040
		.amdhsa_private_segment_fixed_size 0
		.amdhsa_kernarg_size 48
		.amdhsa_user_sgpr_count 6
		.amdhsa_user_sgpr_private_segment_buffer 1
		.amdhsa_user_sgpr_dispatch_ptr 0
		.amdhsa_user_sgpr_queue_ptr 0
		.amdhsa_user_sgpr_kernarg_segment_ptr 1
		.amdhsa_user_sgpr_dispatch_id 0
		.amdhsa_user_sgpr_flat_scratch_init 0
		.amdhsa_user_sgpr_kernarg_preload_length 0
		.amdhsa_user_sgpr_kernarg_preload_offset 0
		.amdhsa_user_sgpr_private_segment_size 0
		.amdhsa_uses_dynamic_stack 0
		.amdhsa_system_sgpr_private_segment_wavefront_offset 0
		.amdhsa_system_sgpr_workgroup_id_x 1
		.amdhsa_system_sgpr_workgroup_id_y 0
		.amdhsa_system_sgpr_workgroup_id_z 0
		.amdhsa_system_sgpr_workgroup_info 0
		.amdhsa_system_vgpr_workitem_id 0
		.amdhsa_next_free_vgpr 36
		.amdhsa_next_free_sgpr 16
		.amdhsa_accum_offset 36
		.amdhsa_reserve_vcc 1
		.amdhsa_reserve_flat_scratch 0
		.amdhsa_float_round_mode_32 0
		.amdhsa_float_round_mode_16_64 0
		.amdhsa_float_denorm_mode_32 3
		.amdhsa_float_denorm_mode_16_64 3
		.amdhsa_dx10_clamp 1
		.amdhsa_ieee_mode 1
		.amdhsa_fp16_overflow 0
		.amdhsa_tg_split 0
		.amdhsa_exception_fp_ieee_invalid_op 0
		.amdhsa_exception_fp_denorm_src 0
		.amdhsa_exception_fp_ieee_div_zero 0
		.amdhsa_exception_fp_ieee_overflow 0
		.amdhsa_exception_fp_ieee_underflow 0
		.amdhsa_exception_fp_ieee_inexact 0
		.amdhsa_exception_int_div_zero 0
	.end_amdhsa_kernel
	.section	.text._ZN9rocsparseL51gtsv_nopivot_strided_batch_crpcr_pow2_shared_kernelILj256ELj64E21rocsparse_complex_numIfEEEviiiPKT1_S5_S5_PS3_,"axG",@progbits,_ZN9rocsparseL51gtsv_nopivot_strided_batch_crpcr_pow2_shared_kernelILj256ELj64E21rocsparse_complex_numIfEEEviiiPKT1_S5_S5_PS3_,comdat
.Lfunc_end50:
	.size	_ZN9rocsparseL51gtsv_nopivot_strided_batch_crpcr_pow2_shared_kernelILj256ELj64E21rocsparse_complex_numIfEEEviiiPKT1_S5_S5_PS3_, .Lfunc_end50-_ZN9rocsparseL51gtsv_nopivot_strided_batch_crpcr_pow2_shared_kernelILj256ELj64E21rocsparse_complex_numIfEEEviiiPKT1_S5_S5_PS3_
                                        ; -- End function
	.section	.AMDGPU.csdata,"",@progbits
; Kernel info:
; codeLenInByte = 6340
; NumSgprs: 20
; NumVgprs: 36
; NumAgprs: 0
; TotalNumVgprs: 36
; ScratchSize: 0
; MemoryBound: 0
; FloatMode: 240
; IeeeMode: 1
; LDSByteSize: 23040 bytes/workgroup (compile time only)
; SGPRBlocks: 2
; VGPRBlocks: 4
; NumSGPRsForWavesPerEU: 20
; NumVGPRsForWavesPerEU: 36
; AccumOffset: 36
; Occupancy: 2
; WaveLimiterHint : 0
; COMPUTE_PGM_RSRC2:SCRATCH_EN: 0
; COMPUTE_PGM_RSRC2:USER_SGPR: 6
; COMPUTE_PGM_RSRC2:TRAP_HANDLER: 0
; COMPUTE_PGM_RSRC2:TGID_X_EN: 1
; COMPUTE_PGM_RSRC2:TGID_Y_EN: 0
; COMPUTE_PGM_RSRC2:TGID_Z_EN: 0
; COMPUTE_PGM_RSRC2:TIDIG_COMP_CNT: 0
; COMPUTE_PGM_RSRC3_GFX90A:ACCUM_OFFSET: 8
; COMPUTE_PGM_RSRC3_GFX90A:TG_SPLIT: 0
	.section	.text._ZN9rocsparseL44gtsv_nopivot_strided_batch_pcr_shared_kernelILj4E21rocsparse_complex_numIfEEEviiiPKT0_S5_S5_PS3_,"axG",@progbits,_ZN9rocsparseL44gtsv_nopivot_strided_batch_pcr_shared_kernelILj4E21rocsparse_complex_numIfEEEviiiPKT0_S5_S5_PS3_,comdat
	.globl	_ZN9rocsparseL44gtsv_nopivot_strided_batch_pcr_shared_kernelILj4E21rocsparse_complex_numIfEEEviiiPKT0_S5_S5_PS3_ ; -- Begin function _ZN9rocsparseL44gtsv_nopivot_strided_batch_pcr_shared_kernelILj4E21rocsparse_complex_numIfEEEviiiPKT0_S5_S5_PS3_
	.p2align	8
	.type	_ZN9rocsparseL44gtsv_nopivot_strided_batch_pcr_shared_kernelILj4E21rocsparse_complex_numIfEEEviiiPKT0_S5_S5_PS3_,@function
_ZN9rocsparseL44gtsv_nopivot_strided_batch_pcr_shared_kernelILj4E21rocsparse_complex_numIfEEEviiiPKT0_S5_S5_PS3_: ; @_ZN9rocsparseL44gtsv_nopivot_strided_batch_pcr_shared_kernelILj4E21rocsparse_complex_numIfEEEviiiPKT0_S5_S5_PS3_
; %bb.0:
	s_load_dword s0, s[4:5], 0x8
	s_load_dword s8, s[4:5], 0x0
	v_mov_b32_e32 v4, 0
	v_mov_b32_e32 v6, 0
	;; [unrolled: 1-line block ×3, first 2 shown]
	s_waitcnt lgkmcnt(0)
	s_mul_i32 s6, s6, s0
	v_add_u32_e32 v2, s6, v0
	v_cmp_gt_i32_e64 s[0:1], s8, v0
	v_ashrrev_i32_e32 v3, 31, v2
	s_and_saveexec_b64 s[2:3], s[0:1]
	s_cbranch_execz .LBB51_2
; %bb.1:
	s_load_dwordx2 s[6:7], s[4:5], 0x10
	v_lshlrev_b64 v[6:7], 3, v[2:3]
	s_waitcnt lgkmcnt(0)
	v_mov_b32_e32 v1, s7
	v_add_co_u32_e32 v6, vcc, s6, v6
	v_addc_co_u32_e32 v7, vcc, v1, v7, vcc
	global_load_dwordx2 v[6:7], v[6:7], off
.LBB51_2:
	s_or_b64 exec, exec, s[2:3]
	v_lshlrev_b32_e32 v1, 3, v0
	v_mov_b32_e32 v5, 0
	s_waitcnt vmcnt(0)
	ds_write_b64 v1, v[6:7]
	s_and_saveexec_b64 s[2:3], s[0:1]
	s_cbranch_execz .LBB51_4
; %bb.3:
	s_load_dwordx2 s[6:7], s[4:5], 0x18
	v_lshlrev_b64 v[4:5], 3, v[2:3]
	s_waitcnt lgkmcnt(0)
	v_mov_b32_e32 v6, s7
	v_add_co_u32_e32 v4, vcc, s6, v4
	v_addc_co_u32_e32 v5, vcc, v6, v5, vcc
	global_load_dwordx2 v[4:5], v[4:5], off
.LBB51_4:
	s_or_b64 exec, exec, s[2:3]
	s_load_dwordx2 s[2:3], s[4:5], 0x28
	s_waitcnt vmcnt(0)
	ds_write_b64 v1, v[4:5] offset:32
	v_mov_b32_e32 v4, 0
	v_mov_b32_e32 v6, 0
	v_mov_b32_e32 v7, 0
	s_and_saveexec_b64 s[6:7], s[0:1]
	s_cbranch_execz .LBB51_6
; %bb.5:
	s_load_dwordx2 s[4:5], s[4:5], 0x20
	v_lshlrev_b64 v[6:7], 3, v[2:3]
	s_waitcnt lgkmcnt(0)
	v_mov_b32_e32 v5, s5
	v_add_co_u32_e32 v6, vcc, s4, v6
	v_addc_co_u32_e32 v7, vcc, v5, v7, vcc
	global_load_dwordx2 v[6:7], v[6:7], off
.LBB51_6:
	s_or_b64 exec, exec, s[6:7]
	v_or_b32_e32 v8, 32, v1
	v_or_b32_e32 v9, 64, v1
	v_mov_b32_e32 v5, 0
	s_waitcnt vmcnt(0)
	ds_write_b64 v1, v[6:7] offset:64
	s_and_saveexec_b64 s[4:5], s[0:1]
	s_cbranch_execz .LBB51_8
; %bb.7:
	v_lshlrev_b64 v[4:5], 3, v[2:3]
	s_waitcnt lgkmcnt(0)
	v_mov_b32_e32 v6, s3
	v_add_co_u32_e32 v4, vcc, s2, v4
	v_addc_co_u32_e32 v5, vcc, v6, v5, vcc
	global_load_dwordx2 v[4:5], v[4:5], off
.LBB51_8:
	s_or_b64 exec, exec, s[4:5]
	s_waitcnt vmcnt(0)
	ds_write_b64 v1, v[4:5] offset:128
	v_max_u32_e32 v4, 1, v0
	v_lshlrev_b32_e32 v18, 3, v4
	s_waitcnt lgkmcnt(0)
	; wave barrier
	s_waitcnt lgkmcnt(0)
	ds_read2_b64 v[4:7], v18 offset0:3 offset1:7
	s_add_i32 s4, s8, -1
	v_mov_b32_e32 v11, s4
	v_add_u32_e32 v10, 1, v0
	v_cmp_gt_i32_e32 vcc, s8, v10
	s_waitcnt lgkmcnt(0)
	v_mul_f32_e32 v12, v5, v5
	v_fmac_f32_e32 v12, v4, v4
	v_div_scale_f32 v13, s[4:5], v12, v12, 1.0
	v_rcp_f32_e32 v16, v13
	v_cndmask_b32_e32 v10, v11, v10, vcc
	v_add_u32_e32 v17, -8, v18
	v_lshlrev_b32_e32 v27, 3, v10
	v_fma_f32 v11, -v13, v16, 1.0
	v_fmac_f32_e32 v16, v11, v16
	v_div_scale_f32 v11, vcc, 1.0, v12, 1.0
	v_mul_f32_e32 v19, v11, v16
	v_fma_f32 v20, -v13, v19, v11
	v_fmac_f32_e32 v19, v20, v16
	v_fma_f32 v11, -v13, v19, v11
	v_div_fmas_f32 v11, v11, v16, v19
	ds_read_b64 v[14:15], v1
	v_div_fixup_f32 v23, v11, v12, 1.0
	ds_read2_b64 v[10:13], v27 offset1:4
	ds_read_b64 v[16:17], v17
	ds_read_b64 v[18:19], v18 offset:120
	ds_read_b64 v[20:21], v1 offset:128
	s_waitcnt lgkmcnt(3)
	v_mul_f32_e32 v24, v13, v13
	v_fmac_f32_e32 v24, v12, v12
	v_div_scale_f32 v25, s[4:5], v24, v24, 1.0
	v_rcp_f32_e32 v26, v25
	v_mul_f32_e32 v22, v5, v15
	v_mul_f32_e64 v5, v5, -v14
	v_fmac_f32_e32 v5, v15, v4
	v_fmac_f32_e32 v22, v14, v4
	v_mul_f32_e32 v4, v5, v23
	v_fma_f32 v5, -v25, v26, 1.0
	v_fmac_f32_e32 v26, v5, v26
	v_div_scale_f32 v5, vcc, 1.0, v24, 1.0
	v_mul_f32_e32 v22, v23, v22
	v_mul_f32_e32 v23, v5, v26
	v_fma_f32 v14, -v25, v23, v5
	v_fmac_f32_e32 v23, v14, v26
	ds_read_b64 v[14:15], v9
	v_fma_f32 v5, -v25, v23, v5
	v_div_fmas_f32 v5, v5, v26, v23
	v_div_fixup_f32 v5, v5, v24, 1.0
	ds_read_b64 v[24:25], v8
	s_waitcnt lgkmcnt(1)
	v_mul_f32_e32 v23, v13, v15
	v_mul_f32_e64 v13, v13, -v14
	v_fmac_f32_e32 v13, v15, v12
	v_fmac_f32_e32 v23, v14, v12
	v_mul_f32_e32 v28, v13, v5
	ds_read2_b64 v[12:15], v27 offset0:8 offset1:16
	v_pk_mul_f32 v[30:31], v[4:5], v[6:7] op_sel:[0,1] op_sel_hi:[0,0] neg_lo:[0,1]
	v_pk_fma_f32 v[6:7], v[6:7], v[22:23], v[30:31] op_sel_hi:[1,0,1]
	v_mul_f32_e32 v26, v5, v23
	s_waitcnt lgkmcnt(1)
	v_pk_add_f32 v[6:7], v[24:25], v[6:7] neg_lo:[0,1] neg_hi:[0,1]
	v_pk_mul_f32 v[24:25], v[28:29], v[10:11] op_sel:[0,1] op_sel_hi:[0,0] neg_lo:[0,1]
	v_pk_fma_f32 v[10:11], v[10:11], v[26:27], v[24:25] op_sel_hi:[1,0,1]
	v_pk_add_f32 v[6:7], v[6:7], v[10:11] neg_lo:[0,1] neg_hi:[0,1]
	v_pk_mul_f32 v[10:11], v[4:5], v[18:19] op_sel:[0,1] op_sel_hi:[0,0] neg_lo:[0,1]
	v_pk_fma_f32 v[10:11], v[18:19], v[22:23], v[10:11] op_sel_hi:[1,0,1]
	s_waitcnt lgkmcnt(0)
	v_pk_mul_f32 v[18:19], v[28:29], v[14:15] op_sel:[0,1] op_sel_hi:[0,0] neg_lo:[0,1]
	v_pk_add_f32 v[10:11], v[20:21], v[10:11] neg_lo:[0,1] neg_hi:[0,1]
	v_pk_fma_f32 v[14:15], v[14:15], v[26:27], v[18:19] op_sel_hi:[1,0,1]
	v_pk_add_f32 v[10:11], v[10:11], v[14:15] neg_lo:[0,1] neg_hi:[0,1]
	v_pk_mul_f32 v[4:5], v[4:5], v[16:17] op_sel:[0,1] op_sel_hi:[0,0] neg_hi:[0,1]
	v_pk_mul_f32 v[14:15], v[28:29], v[12:13] op_sel:[0,1] op_sel_hi:[0,0] neg_hi:[0,1]
	v_cmp_gt_u32_e32 vcc, 2, v0
	v_pk_fma_f32 v[4:5], v[16:17], v[22:23], v[4:5] op_sel_hi:[1,0,1] neg_lo:[1,0,0] neg_hi:[1,0,0]
	v_pk_fma_f32 v[12:13], v[12:13], v[26:27], v[14:15] op_sel_hi:[1,0,1] neg_lo:[1,0,0] neg_hi:[1,0,0]
	s_waitcnt lgkmcnt(0)
	; wave barrier
	ds_write_b64 v8, v[6:7]
	ds_write_b64 v1, v[10:11] offset:128
	ds_write_b64 v1, v[4:5]
	ds_write_b64 v9, v[12:13]
	s_waitcnt lgkmcnt(0)
	; wave barrier
	s_waitcnt lgkmcnt(0)
	s_and_saveexec_b64 s[4:5], vcc
	s_cbranch_execz .LBB51_14
; %bb.9:
	v_or_b32_e32 v6, 2, v0
	v_or_b32_e32 v7, 0x80, v1
	v_cmp_le_i32_e32 vcc, s8, v6
                                        ; implicit-def: $vgpr4_vgpr5
	s_and_saveexec_b64 s[6:7], vcc
	s_xor_b64 s[6:7], exec, s[6:7]
	s_cbranch_execz .LBB51_11
; %bb.10:
	ds_read_b64 v[4:5], v8
	ds_read_b64 v[6:7], v7
	s_waitcnt lgkmcnt(1)
	v_mul_f32_e32 v10, v5, v5
	v_fmac_f32_e32 v10, v4, v4
	v_div_scale_f32 v11, s[8:9], v10, v10, 1.0
	v_rcp_f32_e32 v12, v11
	v_div_scale_f32 v13, vcc, 1.0, v10, 1.0
	s_waitcnt lgkmcnt(0)
	v_pk_mul_f32 v[8:9], v[4:5], v[6:7] op_sel:[1,1] op_sel_hi:[1,0] neg_hi:[0,1]
	v_fma_f32 v14, -v11, v12, 1.0
	v_fmac_f32_e32 v12, v14, v12
	v_mul_f32_e32 v14, v13, v12
	v_fma_f32 v15, -v11, v14, v13
	v_fmac_f32_e32 v14, v15, v12
	v_fma_f32 v11, -v11, v14, v13
	v_div_fmas_f32 v11, v11, v12, v14
	v_div_fixup_f32 v10, v11, v10, 1.0
	v_pk_fma_f32 v[4:5], v[6:7], v[4:5], v[8:9] op_sel_hi:[1,0,1]
	v_pk_mul_f32 v[4:5], v[10:11], v[4:5] op_sel_hi:[0,1]
                                        ; implicit-def: $vgpr8
                                        ; implicit-def: $vgpr9
                                        ; implicit-def: $vgpr7
                                        ; implicit-def: $vgpr6
.LBB51_11:
	s_andn2_saveexec_b64 s[6:7], s[6:7]
	s_cbranch_execz .LBB51_13
; %bb.12:
	ds_read2_b64 v[10:13], v8 offset1:2
	ds_read_b64 v[4:5], v9
	ds_read_b64 v[8:9], v1 offset:16
	s_waitcnt lgkmcnt(2)
	v_pk_mul_f32 v[14:15], v[10:11], v[12:13] op_sel:[1,1] op_sel_hi:[1,0] neg_lo:[0,1]
	v_pk_fma_f32 v[14:15], v[12:13], v[10:11], v[14:15] op_sel_hi:[1,0,1]
	s_waitcnt lgkmcnt(0)
	v_pk_mul_f32 v[16:17], v[8:9], v[4:5] op_sel:[1,1] op_sel_hi:[1,0] neg_lo:[0,1]
	v_pk_fma_f32 v[16:17], v[4:5], v[8:9], v[16:17] op_sel_hi:[1,0,1]
	v_pk_add_f32 v[18:19], v[14:15], v[16:17] neg_lo:[0,1] neg_hi:[0,1]
	v_mul_f32_e32 v0, v19, v19
	v_fmac_f32_e32 v0, v18, v18
	v_div_scale_f32 v20, s[8:9], v0, v0, 1.0
	v_rcp_f32_e32 v21, v20
	ds_read2_b64 v[14:17], v7 offset1:2
	v_fma_f32 v7, -v20, v21, 1.0
	v_fmac_f32_e32 v21, v7, v21
	v_div_scale_f32 v7, vcc, 1.0, v0, 1.0
	v_mul_f32_e32 v22, v7, v21
	v_fma_f32 v23, -v20, v22, v7
	v_fmac_f32_e32 v22, v23, v21
	v_fma_f32 v7, -v20, v22, v7
	v_div_fmas_f32 v7, v7, v21, v22
	s_waitcnt lgkmcnt(0)
	v_pk_mul_f32 v[20:21], v[14:15], v[12:13] op_sel:[1,1] op_sel_hi:[1,0] neg_lo:[0,1]
	v_pk_fma_f32 v[12:13], v[12:13], v[14:15], v[20:21] op_sel_hi:[1,0,1]
	v_pk_mul_f32 v[20:21], v[16:17], v[4:5] op_sel:[1,1] op_sel_hi:[1,0] neg_lo:[0,1]
	v_div_fixup_f32 v7, v7, v0, 1.0
	v_fma_f32 v0, 0, v19, v18
	v_fma_f32 v18, v18, 0, -v19
	v_pk_fma_f32 v[4:5], v[4:5], v[16:17], v[20:21] op_sel_hi:[1,0,1]
	v_mul_f32_e32 v18, v18, v7
	v_pk_add_f32 v[4:5], v[12:13], v[4:5] neg_lo:[0,1] neg_hi:[0,1]
	v_mul_f32_e32 v0, v0, v7
	v_pk_mul_f32 v[12:13], v[18:19], v[4:5] op_sel:[0,1] op_sel_hi:[0,0] neg_lo:[0,1]
	v_pk_fma_f32 v[4:5], v[4:5], v[0:1], v[12:13] op_sel_hi:[1,0,1]
	ds_write_b64 v1, v[4:5] offset:96
	v_pk_mul_f32 v[4:5], v[10:11], v[16:17] op_sel:[1,1] op_sel_hi:[1,0] neg_lo:[0,1]
	v_pk_fma_f32 v[4:5], v[16:17], v[10:11], v[4:5] op_sel_hi:[1,0,1]
	v_pk_mul_f32 v[10:11], v[8:9], v[14:15] op_sel:[1,1] op_sel_hi:[1,0] neg_lo:[0,1]
	v_pk_fma_f32 v[8:9], v[14:15], v[8:9], v[10:11] op_sel_hi:[1,0,1]
	v_pk_add_f32 v[4:5], v[4:5], v[8:9] neg_lo:[0,1] neg_hi:[0,1]
	v_pk_mul_f32 v[8:9], v[18:19], v[4:5] op_sel:[0,1] op_sel_hi:[0,0] neg_lo:[0,1]
	v_pk_fma_f32 v[4:5], v[4:5], v[0:1], v[8:9] op_sel_hi:[1,0,1]
	v_mov_b32_e32 v0, v6
.LBB51_13:
	s_or_b64 exec, exec, s[6:7]
	v_lshlrev_b32_e32 v0, 3, v0
	ds_write_b64 v0, v[4:5] offset:96
.LBB51_14:
	s_or_b64 exec, exec, s[4:5]
	s_waitcnt lgkmcnt(0)
	; wave barrier
	s_waitcnt lgkmcnt(0)
	s_and_saveexec_b64 s[4:5], s[0:1]
	s_cbranch_execz .LBB51_16
; %bb.15:
	ds_read_b64 v[0:1], v1 offset:96
	v_lshlrev_b64 v[2:3], 3, v[2:3]
	v_mov_b32_e32 v4, s3
	v_add_co_u32_e32 v2, vcc, s2, v2
	v_addc_co_u32_e32 v3, vcc, v4, v3, vcc
	s_waitcnt lgkmcnt(0)
	global_store_dwordx2 v[2:3], v[0:1], off
.LBB51_16:
	s_endpgm
	.section	.rodata,"a",@progbits
	.p2align	6, 0x0
	.amdhsa_kernel _ZN9rocsparseL44gtsv_nopivot_strided_batch_pcr_shared_kernelILj4E21rocsparse_complex_numIfEEEviiiPKT0_S5_S5_PS3_
		.amdhsa_group_segment_fixed_size 160
		.amdhsa_private_segment_fixed_size 0
		.amdhsa_kernarg_size 48
		.amdhsa_user_sgpr_count 6
		.amdhsa_user_sgpr_private_segment_buffer 1
		.amdhsa_user_sgpr_dispatch_ptr 0
		.amdhsa_user_sgpr_queue_ptr 0
		.amdhsa_user_sgpr_kernarg_segment_ptr 1
		.amdhsa_user_sgpr_dispatch_id 0
		.amdhsa_user_sgpr_flat_scratch_init 0
		.amdhsa_user_sgpr_kernarg_preload_length 0
		.amdhsa_user_sgpr_kernarg_preload_offset 0
		.amdhsa_user_sgpr_private_segment_size 0
		.amdhsa_uses_dynamic_stack 0
		.amdhsa_system_sgpr_private_segment_wavefront_offset 0
		.amdhsa_system_sgpr_workgroup_id_x 1
		.amdhsa_system_sgpr_workgroup_id_y 0
		.amdhsa_system_sgpr_workgroup_id_z 0
		.amdhsa_system_sgpr_workgroup_info 0
		.amdhsa_system_vgpr_workitem_id 0
		.amdhsa_next_free_vgpr 32
		.amdhsa_next_free_sgpr 10
		.amdhsa_accum_offset 32
		.amdhsa_reserve_vcc 1
		.amdhsa_reserve_flat_scratch 0
		.amdhsa_float_round_mode_32 0
		.amdhsa_float_round_mode_16_64 0
		.amdhsa_float_denorm_mode_32 3
		.amdhsa_float_denorm_mode_16_64 3
		.amdhsa_dx10_clamp 1
		.amdhsa_ieee_mode 1
		.amdhsa_fp16_overflow 0
		.amdhsa_tg_split 0
		.amdhsa_exception_fp_ieee_invalid_op 0
		.amdhsa_exception_fp_denorm_src 0
		.amdhsa_exception_fp_ieee_div_zero 0
		.amdhsa_exception_fp_ieee_overflow 0
		.amdhsa_exception_fp_ieee_underflow 0
		.amdhsa_exception_fp_ieee_inexact 0
		.amdhsa_exception_int_div_zero 0
	.end_amdhsa_kernel
	.section	.text._ZN9rocsparseL44gtsv_nopivot_strided_batch_pcr_shared_kernelILj4E21rocsparse_complex_numIfEEEviiiPKT0_S5_S5_PS3_,"axG",@progbits,_ZN9rocsparseL44gtsv_nopivot_strided_batch_pcr_shared_kernelILj4E21rocsparse_complex_numIfEEEviiiPKT0_S5_S5_PS3_,comdat
.Lfunc_end51:
	.size	_ZN9rocsparseL44gtsv_nopivot_strided_batch_pcr_shared_kernelILj4E21rocsparse_complex_numIfEEEviiiPKT0_S5_S5_PS3_, .Lfunc_end51-_ZN9rocsparseL44gtsv_nopivot_strided_batch_pcr_shared_kernelILj4E21rocsparse_complex_numIfEEEviiiPKT0_S5_S5_PS3_
                                        ; -- End function
	.section	.AMDGPU.csdata,"",@progbits
; Kernel info:
; codeLenInByte = 1432
; NumSgprs: 14
; NumVgprs: 32
; NumAgprs: 0
; TotalNumVgprs: 32
; ScratchSize: 0
; MemoryBound: 0
; FloatMode: 240
; IeeeMode: 1
; LDSByteSize: 160 bytes/workgroup (compile time only)
; SGPRBlocks: 1
; VGPRBlocks: 3
; NumSGPRsForWavesPerEU: 14
; NumVGPRsForWavesPerEU: 32
; AccumOffset: 32
; Occupancy: 8
; WaveLimiterHint : 0
; COMPUTE_PGM_RSRC2:SCRATCH_EN: 0
; COMPUTE_PGM_RSRC2:USER_SGPR: 6
; COMPUTE_PGM_RSRC2:TRAP_HANDLER: 0
; COMPUTE_PGM_RSRC2:TGID_X_EN: 1
; COMPUTE_PGM_RSRC2:TGID_Y_EN: 0
; COMPUTE_PGM_RSRC2:TGID_Z_EN: 0
; COMPUTE_PGM_RSRC2:TIDIG_COMP_CNT: 0
; COMPUTE_PGM_RSRC3_GFX90A:ACCUM_OFFSET: 7
; COMPUTE_PGM_RSRC3_GFX90A:TG_SPLIT: 0
	.section	.text._ZN9rocsparseL44gtsv_nopivot_strided_batch_pcr_shared_kernelILj8E21rocsparse_complex_numIfEEEviiiPKT0_S5_S5_PS3_,"axG",@progbits,_ZN9rocsparseL44gtsv_nopivot_strided_batch_pcr_shared_kernelILj8E21rocsparse_complex_numIfEEEviiiPKT0_S5_S5_PS3_,comdat
	.globl	_ZN9rocsparseL44gtsv_nopivot_strided_batch_pcr_shared_kernelILj8E21rocsparse_complex_numIfEEEviiiPKT0_S5_S5_PS3_ ; -- Begin function _ZN9rocsparseL44gtsv_nopivot_strided_batch_pcr_shared_kernelILj8E21rocsparse_complex_numIfEEEviiiPKT0_S5_S5_PS3_
	.p2align	8
	.type	_ZN9rocsparseL44gtsv_nopivot_strided_batch_pcr_shared_kernelILj8E21rocsparse_complex_numIfEEEviiiPKT0_S5_S5_PS3_,@function
_ZN9rocsparseL44gtsv_nopivot_strided_batch_pcr_shared_kernelILj8E21rocsparse_complex_numIfEEEviiiPKT0_S5_S5_PS3_: ; @_ZN9rocsparseL44gtsv_nopivot_strided_batch_pcr_shared_kernelILj8E21rocsparse_complex_numIfEEEviiiPKT0_S5_S5_PS3_
; %bb.0:
	s_load_dword s0, s[4:5], 0x8
	s_load_dword s8, s[4:5], 0x0
	v_mov_b32_e32 v4, 0
	v_mov_b32_e32 v6, 0
	;; [unrolled: 1-line block ×3, first 2 shown]
	s_waitcnt lgkmcnt(0)
	s_mul_i32 s6, s6, s0
	v_add_u32_e32 v2, s6, v0
	v_cmp_gt_i32_e64 s[0:1], s8, v0
	v_ashrrev_i32_e32 v3, 31, v2
	s_and_saveexec_b64 s[2:3], s[0:1]
	s_cbranch_execz .LBB52_2
; %bb.1:
	s_load_dwordx2 s[6:7], s[4:5], 0x10
	v_lshlrev_b64 v[6:7], 3, v[2:3]
	s_waitcnt lgkmcnt(0)
	v_mov_b32_e32 v1, s7
	v_add_co_u32_e32 v6, vcc, s6, v6
	v_addc_co_u32_e32 v7, vcc, v1, v7, vcc
	global_load_dwordx2 v[6:7], v[6:7], off
.LBB52_2:
	s_or_b64 exec, exec, s[2:3]
	v_lshlrev_b32_e32 v1, 3, v0
	v_mov_b32_e32 v5, 0
	s_waitcnt vmcnt(0)
	ds_write_b64 v1, v[6:7]
	s_and_saveexec_b64 s[2:3], s[0:1]
	s_cbranch_execz .LBB52_4
; %bb.3:
	s_load_dwordx2 s[6:7], s[4:5], 0x18
	v_lshlrev_b64 v[4:5], 3, v[2:3]
	s_waitcnt lgkmcnt(0)
	v_mov_b32_e32 v6, s7
	v_add_co_u32_e32 v4, vcc, s6, v4
	v_addc_co_u32_e32 v5, vcc, v6, v5, vcc
	global_load_dwordx2 v[4:5], v[4:5], off
.LBB52_4:
	s_or_b64 exec, exec, s[2:3]
	s_load_dwordx2 s[2:3], s[4:5], 0x28
	s_waitcnt vmcnt(0)
	ds_write_b64 v1, v[4:5] offset:64
	v_mov_b32_e32 v4, 0
	v_mov_b32_e32 v6, 0
	;; [unrolled: 1-line block ×3, first 2 shown]
	s_and_saveexec_b64 s[6:7], s[0:1]
	s_cbranch_execz .LBB52_6
; %bb.5:
	s_load_dwordx2 s[4:5], s[4:5], 0x20
	v_lshlrev_b64 v[6:7], 3, v[2:3]
	s_waitcnt lgkmcnt(0)
	v_mov_b32_e32 v5, s5
	v_add_co_u32_e32 v6, vcc, s4, v6
	v_addc_co_u32_e32 v7, vcc, v5, v7, vcc
	global_load_dwordx2 v[6:7], v[6:7], off
.LBB52_6:
	s_or_b64 exec, exec, s[6:7]
	v_or_b32_e32 v8, 64, v1
	v_or_b32_e32 v9, 0x80, v1
	v_mov_b32_e32 v5, 0
	s_waitcnt vmcnt(0)
	ds_write_b64 v1, v[6:7] offset:128
	s_and_saveexec_b64 s[4:5], s[0:1]
	s_cbranch_execz .LBB52_8
; %bb.7:
	v_lshlrev_b64 v[4:5], 3, v[2:3]
	s_waitcnt lgkmcnt(0)
	v_mov_b32_e32 v6, s3
	v_add_co_u32_e32 v4, vcc, s2, v4
	v_addc_co_u32_e32 v5, vcc, v6, v5, vcc
	global_load_dwordx2 v[4:5], v[4:5], off
.LBB52_8:
	s_or_b64 exec, exec, s[4:5]
	s_waitcnt vmcnt(0)
	ds_write_b64 v1, v[4:5] offset:256
	v_max_u32_e32 v4, 1, v0
	v_lshlrev_b32_e32 v18, 3, v4
	s_waitcnt lgkmcnt(0)
	; wave barrier
	s_waitcnt lgkmcnt(0)
	ds_read2_b64 v[4:7], v18 offset0:7 offset1:15
	s_add_i32 s4, s8, -1
	v_mov_b32_e32 v23, s4
	v_add_u32_e32 v10, 1, v0
	v_cmp_gt_i32_e32 vcc, s8, v10
	s_waitcnt lgkmcnt(0)
	v_mul_f32_e32 v11, v5, v5
	v_fmac_f32_e32 v11, v4, v4
	v_div_scale_f32 v12, s[4:5], v11, v11, 1.0
	v_rcp_f32_e32 v13, v12
	v_cndmask_b32_e32 v10, v23, v10, vcc
	v_add_u32_e32 v16, -8, v18
	v_lshlrev_b32_e32 v27, 3, v10
	v_fma_f32 v17, -v12, v13, 1.0
	v_fmac_f32_e32 v13, v17, v13
	v_div_scale_f32 v17, vcc, 1.0, v11, 1.0
	v_mul_f32_e32 v19, v17, v13
	v_fma_f32 v20, -v12, v19, v17
	v_fmac_f32_e32 v19, v20, v13
	v_fma_f32 v12, -v12, v19, v17
	v_div_fmas_f32 v12, v12, v13, v19
	ds_read_b64 v[14:15], v1
	v_div_fixup_f32 v24, v12, v11, 1.0
	ds_read2_b64 v[10:13], v27 offset1:8
	ds_read_b64 v[16:17], v16
	ds_read_b64 v[18:19], v18 offset:248
	ds_read_b64 v[20:21], v1 offset:256
	s_waitcnt lgkmcnt(3)
	v_mul_f32_e32 v25, v13, v13
	v_fmac_f32_e32 v25, v12, v12
	v_div_scale_f32 v26, s[4:5], v25, v25, 1.0
	v_rcp_f32_e32 v28, v26
	v_mul_f32_e32 v22, v5, v15
	v_mul_f32_e64 v5, v5, -v14
	v_fmac_f32_e32 v5, v15, v4
	v_fmac_f32_e32 v22, v14, v4
	v_mul_f32_e32 v4, v5, v24
	v_fma_f32 v5, -v26, v28, 1.0
	v_fmac_f32_e32 v28, v5, v28
	v_div_scale_f32 v5, vcc, 1.0, v25, 1.0
	v_mul_f32_e32 v22, v24, v22
	v_mul_f32_e32 v24, v5, v28
	v_fma_f32 v14, -v26, v24, v5
	v_fmac_f32_e32 v24, v14, v28
	ds_read_b64 v[14:15], v9
	v_fma_f32 v5, -v26, v24, v5
	v_div_fmas_f32 v5, v5, v28, v24
	v_div_fixup_f32 v5, v5, v25, 1.0
	ds_read_b64 v[24:25], v8
	s_waitcnt lgkmcnt(1)
	v_mul_f32_e32 v26, v13, v15
	v_mul_f32_e64 v13, v13, -v14
	v_fmac_f32_e32 v13, v15, v12
	v_fmac_f32_e32 v26, v14, v12
	v_mul_f32_e32 v28, v13, v5
	ds_read2_b64 v[12:15], v27 offset0:16 offset1:32
	v_pk_mul_f32 v[30:31], v[4:5], v[6:7] op_sel:[0,1] op_sel_hi:[0,0] neg_lo:[0,1]
	v_pk_fma_f32 v[6:7], v[6:7], v[22:23], v[30:31] op_sel_hi:[1,0,1]
	v_mul_f32_e32 v26, v5, v26
	s_waitcnt lgkmcnt(1)
	v_pk_add_f32 v[6:7], v[24:25], v[6:7] neg_lo:[0,1] neg_hi:[0,1]
	v_pk_mul_f32 v[24:25], v[28:29], v[10:11] op_sel:[0,1] op_sel_hi:[0,0] neg_lo:[0,1]
	v_pk_fma_f32 v[10:11], v[10:11], v[26:27], v[24:25] op_sel_hi:[1,0,1]
	v_pk_add_f32 v[6:7], v[6:7], v[10:11] neg_lo:[0,1] neg_hi:[0,1]
	v_pk_mul_f32 v[10:11], v[4:5], v[18:19] op_sel:[0,1] op_sel_hi:[0,0] neg_lo:[0,1]
	v_pk_fma_f32 v[10:11], v[18:19], v[22:23], v[10:11] op_sel_hi:[1,0,1]
	s_waitcnt lgkmcnt(0)
	v_pk_mul_f32 v[18:19], v[28:29], v[14:15] op_sel:[0,1] op_sel_hi:[0,0] neg_lo:[0,1]
	v_pk_add_f32 v[10:11], v[20:21], v[10:11] neg_lo:[0,1] neg_hi:[0,1]
	v_pk_fma_f32 v[14:15], v[14:15], v[26:27], v[18:19] op_sel_hi:[1,0,1]
	v_pk_mul_f32 v[4:5], v[4:5], v[16:17] op_sel:[0,1] op_sel_hi:[0,0] neg_hi:[0,1]
	v_pk_add_f32 v[10:11], v[10:11], v[14:15] neg_lo:[0,1] neg_hi:[0,1]
	v_pk_fma_f32 v[4:5], v[16:17], v[22:23], v[4:5] op_sel_hi:[1,0,1] neg_lo:[1,0,0] neg_hi:[1,0,0]
	v_pk_mul_f32 v[14:15], v[28:29], v[12:13] op_sel:[0,1] op_sel_hi:[0,0] neg_hi:[0,1]
	v_pk_fma_f32 v[12:13], v[12:13], v[26:27], v[14:15] op_sel_hi:[1,0,1] neg_lo:[1,0,0] neg_hi:[1,0,0]
	s_waitcnt lgkmcnt(0)
	; wave barrier
	ds_write_b64 v8, v[6:7]
	ds_write_b64 v1, v[10:11] offset:256
	ds_write_b64 v1, v[4:5]
	ds_write_b64 v9, v[12:13]
	v_max_u32_e32 v4, 2, v0
	v_lshlrev_b32_e32 v18, 3, v4
	s_waitcnt lgkmcnt(0)
	; wave barrier
	s_waitcnt lgkmcnt(0)
	ds_read2_b64 v[4:7], v18 offset0:6 offset1:14
	v_add_u32_e32 v10, 2, v0
	v_cmp_gt_i32_e32 vcc, s8, v10
	v_cndmask_b32_e32 v10, v23, v10, vcc
	v_add_u32_e32 v16, -16, v18
	s_waitcnt lgkmcnt(0)
	v_mul_f32_e32 v11, v5, v5
	v_fmac_f32_e32 v11, v4, v4
	v_div_scale_f32 v12, s[4:5], v11, v11, 1.0
	v_rcp_f32_e32 v13, v12
	v_lshlrev_b32_e32 v27, 3, v10
	ds_read_b64 v[14:15], v1
	v_fma_f32 v17, -v12, v13, 1.0
	v_fmac_f32_e32 v13, v17, v13
	v_div_scale_f32 v17, vcc, 1.0, v11, 1.0
	v_mul_f32_e32 v19, v17, v13
	v_fma_f32 v20, -v12, v19, v17
	v_fmac_f32_e32 v19, v20, v13
	v_fma_f32 v12, -v12, v19, v17
	v_div_fmas_f32 v12, v12, v13, v19
	v_div_fixup_f32 v23, v12, v11, 1.0
	ds_read2_b64 v[10:13], v27 offset1:8
	ds_read_b64 v[16:17], v16
	ds_read_b64 v[18:19], v18 offset:240
	ds_read_b64 v[20:21], v1 offset:256
	s_waitcnt lgkmcnt(4)
	v_mul_f32_e32 v22, v5, v15
	s_waitcnt lgkmcnt(3)
	v_mul_f32_e32 v24, v13, v13
	v_fmac_f32_e32 v24, v12, v12
	v_div_scale_f32 v25, s[4:5], v24, v24, 1.0
	v_rcp_f32_e32 v26, v25
	v_mul_f32_e64 v5, v5, -v14
	v_fmac_f32_e32 v5, v15, v4
	v_fmac_f32_e32 v22, v14, v4
	v_mul_f32_e32 v4, v5, v23
	v_fma_f32 v5, -v25, v26, 1.0
	v_fmac_f32_e32 v26, v5, v26
	v_div_scale_f32 v5, vcc, 1.0, v24, 1.0
	v_mul_f32_e32 v22, v23, v22
	v_mul_f32_e32 v23, v5, v26
	v_fma_f32 v14, -v25, v23, v5
	v_fmac_f32_e32 v23, v14, v26
	ds_read_b64 v[14:15], v9
	v_fma_f32 v5, -v25, v23, v5
	v_div_fmas_f32 v5, v5, v26, v23
	v_div_fixup_f32 v5, v5, v24, 1.0
	ds_read_b64 v[24:25], v8
	s_waitcnt lgkmcnt(1)
	v_mul_f32_e32 v23, v13, v15
	v_mul_f32_e64 v13, v13, -v14
	v_fmac_f32_e32 v13, v15, v12
	v_fmac_f32_e32 v23, v14, v12
	v_mul_f32_e32 v28, v13, v5
	ds_read2_b64 v[12:15], v27 offset0:16 offset1:32
	v_pk_mul_f32 v[30:31], v[4:5], v[6:7] op_sel:[0,1] op_sel_hi:[0,0] neg_lo:[0,1]
	v_pk_fma_f32 v[6:7], v[6:7], v[22:23], v[30:31] op_sel_hi:[1,0,1]
	v_mul_f32_e32 v26, v5, v23
	s_waitcnt lgkmcnt(1)
	v_pk_add_f32 v[6:7], v[24:25], v[6:7] neg_lo:[0,1] neg_hi:[0,1]
	v_pk_mul_f32 v[24:25], v[28:29], v[10:11] op_sel:[0,1] op_sel_hi:[0,0] neg_lo:[0,1]
	v_pk_fma_f32 v[10:11], v[10:11], v[26:27], v[24:25] op_sel_hi:[1,0,1]
	v_pk_add_f32 v[6:7], v[6:7], v[10:11] neg_lo:[0,1] neg_hi:[0,1]
	v_pk_mul_f32 v[10:11], v[4:5], v[18:19] op_sel:[0,1] op_sel_hi:[0,0] neg_lo:[0,1]
	v_pk_fma_f32 v[10:11], v[18:19], v[22:23], v[10:11] op_sel_hi:[1,0,1]
	s_waitcnt lgkmcnt(0)
	v_pk_mul_f32 v[18:19], v[28:29], v[14:15] op_sel:[0,1] op_sel_hi:[0,0] neg_lo:[0,1]
	v_pk_add_f32 v[10:11], v[20:21], v[10:11] neg_lo:[0,1] neg_hi:[0,1]
	v_pk_fma_f32 v[14:15], v[14:15], v[26:27], v[18:19] op_sel_hi:[1,0,1]
	v_pk_add_f32 v[10:11], v[10:11], v[14:15] neg_lo:[0,1] neg_hi:[0,1]
	v_pk_mul_f32 v[4:5], v[4:5], v[16:17] op_sel:[0,1] op_sel_hi:[0,0] neg_hi:[0,1]
	v_pk_mul_f32 v[14:15], v[28:29], v[12:13] op_sel:[0,1] op_sel_hi:[0,0] neg_hi:[0,1]
	v_cmp_gt_u32_e32 vcc, 4, v0
	v_pk_fma_f32 v[4:5], v[16:17], v[22:23], v[4:5] op_sel_hi:[1,0,1] neg_lo:[1,0,0] neg_hi:[1,0,0]
	v_pk_fma_f32 v[12:13], v[12:13], v[26:27], v[14:15] op_sel_hi:[1,0,1] neg_lo:[1,0,0] neg_hi:[1,0,0]
	s_waitcnt lgkmcnt(0)
	; wave barrier
	ds_write_b64 v8, v[6:7]
	ds_write_b64 v1, v[10:11] offset:256
	ds_write_b64 v1, v[4:5]
	ds_write_b64 v9, v[12:13]
	s_waitcnt lgkmcnt(0)
	; wave barrier
	s_waitcnt lgkmcnt(0)
	s_and_saveexec_b64 s[4:5], vcc
	s_cbranch_execz .LBB52_14
; %bb.9:
	v_or_b32_e32 v6, 4, v0
	v_or_b32_e32 v7, 0x100, v1
	v_cmp_le_i32_e32 vcc, s8, v6
                                        ; implicit-def: $vgpr4_vgpr5
	s_and_saveexec_b64 s[6:7], vcc
	s_xor_b64 s[6:7], exec, s[6:7]
	s_cbranch_execz .LBB52_11
; %bb.10:
	ds_read_b64 v[4:5], v8
	ds_read_b64 v[6:7], v7
	s_waitcnt lgkmcnt(1)
	v_mul_f32_e32 v10, v5, v5
	v_fmac_f32_e32 v10, v4, v4
	v_div_scale_f32 v11, s[8:9], v10, v10, 1.0
	v_rcp_f32_e32 v12, v11
	v_div_scale_f32 v13, vcc, 1.0, v10, 1.0
	s_waitcnt lgkmcnt(0)
	v_pk_mul_f32 v[8:9], v[4:5], v[6:7] op_sel:[1,1] op_sel_hi:[1,0] neg_hi:[0,1]
	v_fma_f32 v14, -v11, v12, 1.0
	v_fmac_f32_e32 v12, v14, v12
	v_mul_f32_e32 v14, v13, v12
	v_fma_f32 v15, -v11, v14, v13
	v_fmac_f32_e32 v14, v15, v12
	v_fma_f32 v11, -v11, v14, v13
	v_div_fmas_f32 v11, v11, v12, v14
	v_div_fixup_f32 v10, v11, v10, 1.0
	v_pk_fma_f32 v[4:5], v[6:7], v[4:5], v[8:9] op_sel_hi:[1,0,1]
	v_pk_mul_f32 v[4:5], v[10:11], v[4:5] op_sel_hi:[0,1]
                                        ; implicit-def: $vgpr8
                                        ; implicit-def: $vgpr9
                                        ; implicit-def: $vgpr7
                                        ; implicit-def: $vgpr6
.LBB52_11:
	s_andn2_saveexec_b64 s[6:7], s[6:7]
	s_cbranch_execz .LBB52_13
; %bb.12:
	ds_read2_b64 v[10:13], v8 offset1:4
	ds_read_b64 v[4:5], v9
	ds_read_b64 v[8:9], v1 offset:32
	s_waitcnt lgkmcnt(2)
	v_pk_mul_f32 v[14:15], v[10:11], v[12:13] op_sel:[1,1] op_sel_hi:[1,0] neg_lo:[0,1]
	v_pk_fma_f32 v[14:15], v[12:13], v[10:11], v[14:15] op_sel_hi:[1,0,1]
	s_waitcnt lgkmcnt(0)
	v_pk_mul_f32 v[16:17], v[8:9], v[4:5] op_sel:[1,1] op_sel_hi:[1,0] neg_lo:[0,1]
	v_pk_fma_f32 v[16:17], v[4:5], v[8:9], v[16:17] op_sel_hi:[1,0,1]
	v_pk_add_f32 v[18:19], v[14:15], v[16:17] neg_lo:[0,1] neg_hi:[0,1]
	v_mul_f32_e32 v0, v19, v19
	v_fmac_f32_e32 v0, v18, v18
	v_div_scale_f32 v20, s[8:9], v0, v0, 1.0
	v_rcp_f32_e32 v21, v20
	ds_read2_b64 v[14:17], v7 offset1:4
	v_fma_f32 v7, -v20, v21, 1.0
	v_fmac_f32_e32 v21, v7, v21
	v_div_scale_f32 v7, vcc, 1.0, v0, 1.0
	v_mul_f32_e32 v22, v7, v21
	v_fma_f32 v23, -v20, v22, v7
	v_fmac_f32_e32 v22, v23, v21
	v_fma_f32 v7, -v20, v22, v7
	v_div_fmas_f32 v7, v7, v21, v22
	s_waitcnt lgkmcnt(0)
	v_pk_mul_f32 v[20:21], v[14:15], v[12:13] op_sel:[1,1] op_sel_hi:[1,0] neg_lo:[0,1]
	v_pk_fma_f32 v[12:13], v[12:13], v[14:15], v[20:21] op_sel_hi:[1,0,1]
	v_pk_mul_f32 v[20:21], v[16:17], v[4:5] op_sel:[1,1] op_sel_hi:[1,0] neg_lo:[0,1]
	v_div_fixup_f32 v7, v7, v0, 1.0
	v_fma_f32 v0, 0, v19, v18
	v_fma_f32 v18, v18, 0, -v19
	v_pk_fma_f32 v[4:5], v[4:5], v[16:17], v[20:21] op_sel_hi:[1,0,1]
	v_mul_f32_e32 v18, v18, v7
	v_pk_add_f32 v[4:5], v[12:13], v[4:5] neg_lo:[0,1] neg_hi:[0,1]
	v_mul_f32_e32 v0, v0, v7
	v_pk_mul_f32 v[12:13], v[18:19], v[4:5] op_sel:[0,1] op_sel_hi:[0,0] neg_lo:[0,1]
	v_pk_fma_f32 v[4:5], v[4:5], v[0:1], v[12:13] op_sel_hi:[1,0,1]
	ds_write_b64 v1, v[4:5] offset:192
	v_pk_mul_f32 v[4:5], v[10:11], v[16:17] op_sel:[1,1] op_sel_hi:[1,0] neg_lo:[0,1]
	v_pk_fma_f32 v[4:5], v[16:17], v[10:11], v[4:5] op_sel_hi:[1,0,1]
	v_pk_mul_f32 v[10:11], v[8:9], v[14:15] op_sel:[1,1] op_sel_hi:[1,0] neg_lo:[0,1]
	v_pk_fma_f32 v[8:9], v[14:15], v[8:9], v[10:11] op_sel_hi:[1,0,1]
	v_pk_add_f32 v[4:5], v[4:5], v[8:9] neg_lo:[0,1] neg_hi:[0,1]
	v_pk_mul_f32 v[8:9], v[18:19], v[4:5] op_sel:[0,1] op_sel_hi:[0,0] neg_lo:[0,1]
	v_pk_fma_f32 v[4:5], v[4:5], v[0:1], v[8:9] op_sel_hi:[1,0,1]
	v_mov_b32_e32 v0, v6
.LBB52_13:
	s_or_b64 exec, exec, s[6:7]
	v_lshlrev_b32_e32 v0, 3, v0
	ds_write_b64 v0, v[4:5] offset:192
.LBB52_14:
	s_or_b64 exec, exec, s[4:5]
	s_waitcnt lgkmcnt(0)
	; wave barrier
	s_waitcnt lgkmcnt(0)
	s_and_saveexec_b64 s[4:5], s[0:1]
	s_cbranch_execz .LBB52_16
; %bb.15:
	ds_read_b64 v[0:1], v1 offset:192
	v_lshlrev_b64 v[2:3], 3, v[2:3]
	v_mov_b32_e32 v4, s3
	v_add_co_u32_e32 v2, vcc, s2, v2
	v_addc_co_u32_e32 v3, vcc, v4, v3, vcc
	s_waitcnt lgkmcnt(0)
	global_store_dwordx2 v[2:3], v[0:1], off
.LBB52_16:
	s_endpgm
	.section	.rodata,"a",@progbits
	.p2align	6, 0x0
	.amdhsa_kernel _ZN9rocsparseL44gtsv_nopivot_strided_batch_pcr_shared_kernelILj8E21rocsparse_complex_numIfEEEviiiPKT0_S5_S5_PS3_
		.amdhsa_group_segment_fixed_size 320
		.amdhsa_private_segment_fixed_size 0
		.amdhsa_kernarg_size 48
		.amdhsa_user_sgpr_count 6
		.amdhsa_user_sgpr_private_segment_buffer 1
		.amdhsa_user_sgpr_dispatch_ptr 0
		.amdhsa_user_sgpr_queue_ptr 0
		.amdhsa_user_sgpr_kernarg_segment_ptr 1
		.amdhsa_user_sgpr_dispatch_id 0
		.amdhsa_user_sgpr_flat_scratch_init 0
		.amdhsa_user_sgpr_kernarg_preload_length 0
		.amdhsa_user_sgpr_kernarg_preload_offset 0
		.amdhsa_user_sgpr_private_segment_size 0
		.amdhsa_uses_dynamic_stack 0
		.amdhsa_system_sgpr_private_segment_wavefront_offset 0
		.amdhsa_system_sgpr_workgroup_id_x 1
		.amdhsa_system_sgpr_workgroup_id_y 0
		.amdhsa_system_sgpr_workgroup_id_z 0
		.amdhsa_system_sgpr_workgroup_info 0
		.amdhsa_system_vgpr_workitem_id 0
		.amdhsa_next_free_vgpr 32
		.amdhsa_next_free_sgpr 10
		.amdhsa_accum_offset 32
		.amdhsa_reserve_vcc 1
		.amdhsa_reserve_flat_scratch 0
		.amdhsa_float_round_mode_32 0
		.amdhsa_float_round_mode_16_64 0
		.amdhsa_float_denorm_mode_32 3
		.amdhsa_float_denorm_mode_16_64 3
		.amdhsa_dx10_clamp 1
		.amdhsa_ieee_mode 1
		.amdhsa_fp16_overflow 0
		.amdhsa_tg_split 0
		.amdhsa_exception_fp_ieee_invalid_op 0
		.amdhsa_exception_fp_denorm_src 0
		.amdhsa_exception_fp_ieee_div_zero 0
		.amdhsa_exception_fp_ieee_overflow 0
		.amdhsa_exception_fp_ieee_underflow 0
		.amdhsa_exception_fp_ieee_inexact 0
		.amdhsa_exception_int_div_zero 0
	.end_amdhsa_kernel
	.section	.text._ZN9rocsparseL44gtsv_nopivot_strided_batch_pcr_shared_kernelILj8E21rocsparse_complex_numIfEEEviiiPKT0_S5_S5_PS3_,"axG",@progbits,_ZN9rocsparseL44gtsv_nopivot_strided_batch_pcr_shared_kernelILj8E21rocsparse_complex_numIfEEEviiiPKT0_S5_S5_PS3_,comdat
.Lfunc_end52:
	.size	_ZN9rocsparseL44gtsv_nopivot_strided_batch_pcr_shared_kernelILj8E21rocsparse_complex_numIfEEEviiiPKT0_S5_S5_PS3_, .Lfunc_end52-_ZN9rocsparseL44gtsv_nopivot_strided_batch_pcr_shared_kernelILj8E21rocsparse_complex_numIfEEEviiiPKT0_S5_S5_PS3_
                                        ; -- End function
	.section	.AMDGPU.csdata,"",@progbits
; Kernel info:
; codeLenInByte = 1948
; NumSgprs: 14
; NumVgprs: 32
; NumAgprs: 0
; TotalNumVgprs: 32
; ScratchSize: 0
; MemoryBound: 0
; FloatMode: 240
; IeeeMode: 1
; LDSByteSize: 320 bytes/workgroup (compile time only)
; SGPRBlocks: 1
; VGPRBlocks: 3
; NumSGPRsForWavesPerEU: 14
; NumVGPRsForWavesPerEU: 32
; AccumOffset: 32
; Occupancy: 8
; WaveLimiterHint : 0
; COMPUTE_PGM_RSRC2:SCRATCH_EN: 0
; COMPUTE_PGM_RSRC2:USER_SGPR: 6
; COMPUTE_PGM_RSRC2:TRAP_HANDLER: 0
; COMPUTE_PGM_RSRC2:TGID_X_EN: 1
; COMPUTE_PGM_RSRC2:TGID_Y_EN: 0
; COMPUTE_PGM_RSRC2:TGID_Z_EN: 0
; COMPUTE_PGM_RSRC2:TIDIG_COMP_CNT: 0
; COMPUTE_PGM_RSRC3_GFX90A:ACCUM_OFFSET: 7
; COMPUTE_PGM_RSRC3_GFX90A:TG_SPLIT: 0
	.section	.text._ZN9rocsparseL44gtsv_nopivot_strided_batch_pcr_shared_kernelILj16E21rocsparse_complex_numIfEEEviiiPKT0_S5_S5_PS3_,"axG",@progbits,_ZN9rocsparseL44gtsv_nopivot_strided_batch_pcr_shared_kernelILj16E21rocsparse_complex_numIfEEEviiiPKT0_S5_S5_PS3_,comdat
	.globl	_ZN9rocsparseL44gtsv_nopivot_strided_batch_pcr_shared_kernelILj16E21rocsparse_complex_numIfEEEviiiPKT0_S5_S5_PS3_ ; -- Begin function _ZN9rocsparseL44gtsv_nopivot_strided_batch_pcr_shared_kernelILj16E21rocsparse_complex_numIfEEEviiiPKT0_S5_S5_PS3_
	.p2align	8
	.type	_ZN9rocsparseL44gtsv_nopivot_strided_batch_pcr_shared_kernelILj16E21rocsparse_complex_numIfEEEviiiPKT0_S5_S5_PS3_,@function
_ZN9rocsparseL44gtsv_nopivot_strided_batch_pcr_shared_kernelILj16E21rocsparse_complex_numIfEEEviiiPKT0_S5_S5_PS3_: ; @_ZN9rocsparseL44gtsv_nopivot_strided_batch_pcr_shared_kernelILj16E21rocsparse_complex_numIfEEEviiiPKT0_S5_S5_PS3_
; %bb.0:
	s_load_dword s0, s[4:5], 0x8
	s_load_dword s8, s[4:5], 0x0
	v_mov_b32_e32 v4, 0
	v_mov_b32_e32 v6, 0
	v_mov_b32_e32 v7, 0
	s_waitcnt lgkmcnt(0)
	s_mul_i32 s6, s6, s0
	v_add_u32_e32 v2, s6, v0
	v_cmp_gt_i32_e64 s[0:1], s8, v0
	v_ashrrev_i32_e32 v3, 31, v2
	s_and_saveexec_b64 s[2:3], s[0:1]
	s_cbranch_execz .LBB53_2
; %bb.1:
	s_load_dwordx2 s[6:7], s[4:5], 0x10
	v_lshlrev_b64 v[6:7], 3, v[2:3]
	s_waitcnt lgkmcnt(0)
	v_mov_b32_e32 v1, s7
	v_add_co_u32_e32 v6, vcc, s6, v6
	v_addc_co_u32_e32 v7, vcc, v1, v7, vcc
	global_load_dwordx2 v[6:7], v[6:7], off
.LBB53_2:
	s_or_b64 exec, exec, s[2:3]
	v_lshlrev_b32_e32 v1, 3, v0
	v_mov_b32_e32 v5, 0
	s_waitcnt vmcnt(0)
	ds_write_b64 v1, v[6:7]
	s_and_saveexec_b64 s[2:3], s[0:1]
	s_cbranch_execz .LBB53_4
; %bb.3:
	s_load_dwordx2 s[6:7], s[4:5], 0x18
	v_lshlrev_b64 v[4:5], 3, v[2:3]
	s_waitcnt lgkmcnt(0)
	v_mov_b32_e32 v6, s7
	v_add_co_u32_e32 v4, vcc, s6, v4
	v_addc_co_u32_e32 v5, vcc, v6, v5, vcc
	global_load_dwordx2 v[4:5], v[4:5], off
.LBB53_4:
	s_or_b64 exec, exec, s[2:3]
	s_load_dwordx2 s[2:3], s[4:5], 0x28
	s_waitcnt vmcnt(0)
	ds_write_b64 v1, v[4:5] offset:128
	v_mov_b32_e32 v4, 0
	v_mov_b32_e32 v6, 0
	;; [unrolled: 1-line block ×3, first 2 shown]
	s_and_saveexec_b64 s[6:7], s[0:1]
	s_cbranch_execz .LBB53_6
; %bb.5:
	s_load_dwordx2 s[4:5], s[4:5], 0x20
	v_lshlrev_b64 v[6:7], 3, v[2:3]
	s_waitcnt lgkmcnt(0)
	v_mov_b32_e32 v5, s5
	v_add_co_u32_e32 v6, vcc, s4, v6
	v_addc_co_u32_e32 v7, vcc, v5, v7, vcc
	global_load_dwordx2 v[6:7], v[6:7], off
.LBB53_6:
	s_or_b64 exec, exec, s[6:7]
	v_or_b32_e32 v8, 0x80, v1
	v_or_b32_e32 v9, 0x100, v1
	v_mov_b32_e32 v5, 0
	s_waitcnt vmcnt(0)
	ds_write_b64 v1, v[6:7] offset:256
	s_and_saveexec_b64 s[4:5], s[0:1]
	s_cbranch_execz .LBB53_8
; %bb.7:
	v_lshlrev_b64 v[4:5], 3, v[2:3]
	s_waitcnt lgkmcnt(0)
	v_mov_b32_e32 v6, s3
	v_add_co_u32_e32 v4, vcc, s2, v4
	v_addc_co_u32_e32 v5, vcc, v6, v5, vcc
	global_load_dwordx2 v[4:5], v[4:5], off
.LBB53_8:
	s_or_b64 exec, exec, s[4:5]
	s_waitcnt vmcnt(0)
	ds_write_b64 v1, v[4:5] offset:512
	v_max_u32_e32 v4, 1, v0
	v_lshlrev_b32_e32 v18, 3, v4
	s_waitcnt lgkmcnt(0)
	; wave barrier
	s_waitcnt lgkmcnt(0)
	ds_read2_b64 v[4:7], v18 offset0:15 offset1:31
	s_add_i32 s4, s8, -1
	v_mov_b32_e32 v23, s4
	v_add_u32_e32 v10, 1, v0
	v_cmp_gt_i32_e32 vcc, s8, v10
	s_waitcnt lgkmcnt(0)
	v_mul_f32_e32 v11, v5, v5
	v_fmac_f32_e32 v11, v4, v4
	v_div_scale_f32 v12, s[4:5], v11, v11, 1.0
	v_rcp_f32_e32 v13, v12
	v_cndmask_b32_e32 v10, v23, v10, vcc
	v_add_u32_e32 v16, -8, v18
	v_lshlrev_b32_e32 v27, 3, v10
	v_fma_f32 v17, -v12, v13, 1.0
	v_fmac_f32_e32 v13, v17, v13
	v_div_scale_f32 v17, vcc, 1.0, v11, 1.0
	v_mul_f32_e32 v19, v17, v13
	v_fma_f32 v20, -v12, v19, v17
	v_fmac_f32_e32 v19, v20, v13
	v_fma_f32 v12, -v12, v19, v17
	v_div_fmas_f32 v12, v12, v13, v19
	ds_read_b64 v[14:15], v1
	v_div_fixup_f32 v24, v12, v11, 1.0
	ds_read2_b64 v[10:13], v27 offset1:16
	ds_read_b64 v[16:17], v16
	ds_read_b64 v[18:19], v18 offset:504
	ds_read_b64 v[20:21], v1 offset:512
	s_waitcnt lgkmcnt(3)
	v_mul_f32_e32 v25, v13, v13
	v_fmac_f32_e32 v25, v12, v12
	v_div_scale_f32 v26, s[4:5], v25, v25, 1.0
	v_rcp_f32_e32 v28, v26
	v_mul_f32_e32 v22, v5, v15
	v_mul_f32_e64 v5, v5, -v14
	v_fmac_f32_e32 v5, v15, v4
	v_fmac_f32_e32 v22, v14, v4
	v_mul_f32_e32 v4, v5, v24
	v_fma_f32 v5, -v26, v28, 1.0
	v_fmac_f32_e32 v28, v5, v28
	v_div_scale_f32 v5, vcc, 1.0, v25, 1.0
	v_mul_f32_e32 v22, v24, v22
	v_mul_f32_e32 v24, v5, v28
	v_fma_f32 v14, -v26, v24, v5
	v_fmac_f32_e32 v24, v14, v28
	ds_read_b64 v[14:15], v9
	v_fma_f32 v5, -v26, v24, v5
	v_div_fmas_f32 v5, v5, v28, v24
	v_div_fixup_f32 v5, v5, v25, 1.0
	ds_read_b64 v[24:25], v8
	s_waitcnt lgkmcnt(1)
	v_mul_f32_e32 v26, v13, v15
	v_mul_f32_e64 v13, v13, -v14
	v_fmac_f32_e32 v13, v15, v12
	v_fmac_f32_e32 v26, v14, v12
	v_mul_f32_e32 v28, v13, v5
	ds_read2_b64 v[12:15], v27 offset0:32 offset1:64
	v_pk_mul_f32 v[30:31], v[4:5], v[6:7] op_sel:[0,1] op_sel_hi:[0,0] neg_lo:[0,1]
	v_pk_fma_f32 v[6:7], v[6:7], v[22:23], v[30:31] op_sel_hi:[1,0,1]
	v_mul_f32_e32 v26, v5, v26
	s_waitcnt lgkmcnt(1)
	v_pk_add_f32 v[6:7], v[24:25], v[6:7] neg_lo:[0,1] neg_hi:[0,1]
	v_pk_mul_f32 v[24:25], v[28:29], v[10:11] op_sel:[0,1] op_sel_hi:[0,0] neg_lo:[0,1]
	v_pk_fma_f32 v[10:11], v[10:11], v[26:27], v[24:25] op_sel_hi:[1,0,1]
	v_pk_add_f32 v[6:7], v[6:7], v[10:11] neg_lo:[0,1] neg_hi:[0,1]
	v_pk_mul_f32 v[10:11], v[4:5], v[18:19] op_sel:[0,1] op_sel_hi:[0,0] neg_lo:[0,1]
	v_pk_fma_f32 v[10:11], v[18:19], v[22:23], v[10:11] op_sel_hi:[1,0,1]
	s_waitcnt lgkmcnt(0)
	v_pk_mul_f32 v[18:19], v[28:29], v[14:15] op_sel:[0,1] op_sel_hi:[0,0] neg_lo:[0,1]
	v_pk_add_f32 v[10:11], v[20:21], v[10:11] neg_lo:[0,1] neg_hi:[0,1]
	v_pk_fma_f32 v[14:15], v[14:15], v[26:27], v[18:19] op_sel_hi:[1,0,1]
	v_pk_mul_f32 v[4:5], v[4:5], v[16:17] op_sel:[0,1] op_sel_hi:[0,0] neg_hi:[0,1]
	v_pk_add_f32 v[10:11], v[10:11], v[14:15] neg_lo:[0,1] neg_hi:[0,1]
	v_pk_fma_f32 v[4:5], v[16:17], v[22:23], v[4:5] op_sel_hi:[1,0,1] neg_lo:[1,0,0] neg_hi:[1,0,0]
	v_pk_mul_f32 v[14:15], v[28:29], v[12:13] op_sel:[0,1] op_sel_hi:[0,0] neg_hi:[0,1]
	v_pk_fma_f32 v[12:13], v[12:13], v[26:27], v[14:15] op_sel_hi:[1,0,1] neg_lo:[1,0,0] neg_hi:[1,0,0]
	s_waitcnt lgkmcnt(0)
	; wave barrier
	ds_write_b64 v8, v[6:7]
	ds_write_b64 v1, v[10:11] offset:512
	ds_write_b64 v1, v[4:5]
	ds_write_b64 v9, v[12:13]
	v_max_u32_e32 v4, 2, v0
	v_lshlrev_b32_e32 v18, 3, v4
	s_waitcnt lgkmcnt(0)
	; wave barrier
	s_waitcnt lgkmcnt(0)
	ds_read2_b64 v[4:7], v18 offset0:14 offset1:30
	v_add_u32_e32 v10, 2, v0
	v_cmp_gt_i32_e32 vcc, s8, v10
	v_cndmask_b32_e32 v10, v23, v10, vcc
	v_add_u32_e32 v16, -16, v18
	s_waitcnt lgkmcnt(0)
	v_mul_f32_e32 v11, v5, v5
	v_fmac_f32_e32 v11, v4, v4
	v_div_scale_f32 v12, s[4:5], v11, v11, 1.0
	v_rcp_f32_e32 v13, v12
	v_lshlrev_b32_e32 v27, 3, v10
	ds_read_b64 v[14:15], v1
	v_fma_f32 v17, -v12, v13, 1.0
	v_fmac_f32_e32 v13, v17, v13
	v_div_scale_f32 v17, vcc, 1.0, v11, 1.0
	v_mul_f32_e32 v19, v17, v13
	v_fma_f32 v20, -v12, v19, v17
	v_fmac_f32_e32 v19, v20, v13
	v_fma_f32 v12, -v12, v19, v17
	v_div_fmas_f32 v12, v12, v13, v19
	v_div_fixup_f32 v24, v12, v11, 1.0
	ds_read2_b64 v[10:13], v27 offset1:16
	ds_read_b64 v[16:17], v16
	ds_read_b64 v[18:19], v18 offset:496
	ds_read_b64 v[20:21], v1 offset:512
	s_waitcnt lgkmcnt(4)
	v_mul_f32_e32 v22, v5, v15
	s_waitcnt lgkmcnt(3)
	v_mul_f32_e32 v25, v13, v13
	v_fmac_f32_e32 v25, v12, v12
	v_div_scale_f32 v26, s[4:5], v25, v25, 1.0
	v_rcp_f32_e32 v28, v26
	v_mul_f32_e64 v5, v5, -v14
	v_fmac_f32_e32 v5, v15, v4
	v_fmac_f32_e32 v22, v14, v4
	v_mul_f32_e32 v4, v5, v24
	v_fma_f32 v5, -v26, v28, 1.0
	v_fmac_f32_e32 v28, v5, v28
	v_div_scale_f32 v5, vcc, 1.0, v25, 1.0
	v_mul_f32_e32 v22, v24, v22
	v_mul_f32_e32 v24, v5, v28
	v_fma_f32 v14, -v26, v24, v5
	v_fmac_f32_e32 v24, v14, v28
	ds_read_b64 v[14:15], v9
	v_fma_f32 v5, -v26, v24, v5
	v_div_fmas_f32 v5, v5, v28, v24
	v_div_fixup_f32 v5, v5, v25, 1.0
	ds_read_b64 v[24:25], v8
	s_waitcnt lgkmcnt(1)
	v_mul_f32_e32 v26, v13, v15
	v_mul_f32_e64 v13, v13, -v14
	v_fmac_f32_e32 v13, v15, v12
	v_fmac_f32_e32 v26, v14, v12
	v_mul_f32_e32 v28, v13, v5
	ds_read2_b64 v[12:15], v27 offset0:32 offset1:64
	v_pk_mul_f32 v[30:31], v[4:5], v[6:7] op_sel:[0,1] op_sel_hi:[0,0] neg_lo:[0,1]
	v_pk_fma_f32 v[6:7], v[6:7], v[22:23], v[30:31] op_sel_hi:[1,0,1]
	v_mul_f32_e32 v26, v5, v26
	s_waitcnt lgkmcnt(1)
	v_pk_add_f32 v[6:7], v[24:25], v[6:7] neg_lo:[0,1] neg_hi:[0,1]
	v_pk_mul_f32 v[24:25], v[28:29], v[10:11] op_sel:[0,1] op_sel_hi:[0,0] neg_lo:[0,1]
	v_pk_fma_f32 v[10:11], v[10:11], v[26:27], v[24:25] op_sel_hi:[1,0,1]
	v_pk_add_f32 v[6:7], v[6:7], v[10:11] neg_lo:[0,1] neg_hi:[0,1]
	v_pk_mul_f32 v[10:11], v[4:5], v[18:19] op_sel:[0,1] op_sel_hi:[0,0] neg_lo:[0,1]
	v_pk_fma_f32 v[10:11], v[18:19], v[22:23], v[10:11] op_sel_hi:[1,0,1]
	s_waitcnt lgkmcnt(0)
	v_pk_mul_f32 v[18:19], v[28:29], v[14:15] op_sel:[0,1] op_sel_hi:[0,0] neg_lo:[0,1]
	v_pk_add_f32 v[10:11], v[20:21], v[10:11] neg_lo:[0,1] neg_hi:[0,1]
	v_pk_fma_f32 v[14:15], v[14:15], v[26:27], v[18:19] op_sel_hi:[1,0,1]
	v_pk_mul_f32 v[4:5], v[4:5], v[16:17] op_sel:[0,1] op_sel_hi:[0,0] neg_hi:[0,1]
	v_pk_add_f32 v[10:11], v[10:11], v[14:15] neg_lo:[0,1] neg_hi:[0,1]
	v_pk_fma_f32 v[4:5], v[16:17], v[22:23], v[4:5] op_sel_hi:[1,0,1] neg_lo:[1,0,0] neg_hi:[1,0,0]
	v_pk_mul_f32 v[14:15], v[28:29], v[12:13] op_sel:[0,1] op_sel_hi:[0,0] neg_hi:[0,1]
	v_pk_fma_f32 v[12:13], v[12:13], v[26:27], v[14:15] op_sel_hi:[1,0,1] neg_lo:[1,0,0] neg_hi:[1,0,0]
	s_waitcnt lgkmcnt(0)
	; wave barrier
	ds_write_b64 v8, v[6:7]
	ds_write_b64 v1, v[10:11] offset:512
	ds_write_b64 v1, v[4:5]
	ds_write_b64 v9, v[12:13]
	v_max_u32_e32 v4, 4, v0
	v_lshlrev_b32_e32 v18, 3, v4
	s_waitcnt lgkmcnt(0)
	; wave barrier
	s_waitcnt lgkmcnt(0)
	ds_read2_b64 v[4:7], v18 offset0:12 offset1:28
	v_add_u32_e32 v10, 4, v0
	v_cmp_gt_i32_e32 vcc, s8, v10
	v_cndmask_b32_e32 v10, v23, v10, vcc
	v_subrev_u32_e32 v16, 32, v18
	s_waitcnt lgkmcnt(0)
	v_mul_f32_e32 v11, v5, v5
	v_fmac_f32_e32 v11, v4, v4
	v_div_scale_f32 v12, s[4:5], v11, v11, 1.0
	v_rcp_f32_e32 v13, v12
	v_lshlrev_b32_e32 v27, 3, v10
	ds_read_b64 v[14:15], v1
	v_fma_f32 v17, -v12, v13, 1.0
	v_fmac_f32_e32 v13, v17, v13
	v_div_scale_f32 v17, vcc, 1.0, v11, 1.0
	v_mul_f32_e32 v19, v17, v13
	v_fma_f32 v20, -v12, v19, v17
	v_fmac_f32_e32 v19, v20, v13
	v_fma_f32 v12, -v12, v19, v17
	v_div_fmas_f32 v12, v12, v13, v19
	v_div_fixup_f32 v23, v12, v11, 1.0
	ds_read2_b64 v[10:13], v27 offset1:16
	ds_read_b64 v[16:17], v16
	ds_read_b64 v[18:19], v18 offset:480
	ds_read_b64 v[20:21], v1 offset:512
	s_waitcnt lgkmcnt(4)
	v_mul_f32_e32 v22, v5, v15
	s_waitcnt lgkmcnt(3)
	v_mul_f32_e32 v24, v13, v13
	v_fmac_f32_e32 v24, v12, v12
	v_div_scale_f32 v25, s[4:5], v24, v24, 1.0
	v_rcp_f32_e32 v26, v25
	v_mul_f32_e64 v5, v5, -v14
	v_fmac_f32_e32 v5, v15, v4
	v_fmac_f32_e32 v22, v14, v4
	v_mul_f32_e32 v4, v5, v23
	v_fma_f32 v5, -v25, v26, 1.0
	v_fmac_f32_e32 v26, v5, v26
	v_div_scale_f32 v5, vcc, 1.0, v24, 1.0
	v_mul_f32_e32 v22, v23, v22
	v_mul_f32_e32 v23, v5, v26
	v_fma_f32 v14, -v25, v23, v5
	v_fmac_f32_e32 v23, v14, v26
	ds_read_b64 v[14:15], v9
	v_fma_f32 v5, -v25, v23, v5
	v_div_fmas_f32 v5, v5, v26, v23
	v_div_fixup_f32 v5, v5, v24, 1.0
	ds_read_b64 v[24:25], v8
	s_waitcnt lgkmcnt(1)
	v_mul_f32_e32 v23, v13, v15
	v_mul_f32_e64 v13, v13, -v14
	v_fmac_f32_e32 v13, v15, v12
	v_fmac_f32_e32 v23, v14, v12
	v_mul_f32_e32 v28, v13, v5
	ds_read2_b64 v[12:15], v27 offset0:32 offset1:64
	v_pk_mul_f32 v[30:31], v[4:5], v[6:7] op_sel:[0,1] op_sel_hi:[0,0] neg_lo:[0,1]
	v_pk_fma_f32 v[6:7], v[6:7], v[22:23], v[30:31] op_sel_hi:[1,0,1]
	v_mul_f32_e32 v26, v5, v23
	s_waitcnt lgkmcnt(1)
	v_pk_add_f32 v[6:7], v[24:25], v[6:7] neg_lo:[0,1] neg_hi:[0,1]
	v_pk_mul_f32 v[24:25], v[28:29], v[10:11] op_sel:[0,1] op_sel_hi:[0,0] neg_lo:[0,1]
	v_pk_fma_f32 v[10:11], v[10:11], v[26:27], v[24:25] op_sel_hi:[1,0,1]
	v_pk_add_f32 v[6:7], v[6:7], v[10:11] neg_lo:[0,1] neg_hi:[0,1]
	v_pk_mul_f32 v[10:11], v[4:5], v[18:19] op_sel:[0,1] op_sel_hi:[0,0] neg_lo:[0,1]
	v_pk_fma_f32 v[10:11], v[18:19], v[22:23], v[10:11] op_sel_hi:[1,0,1]
	s_waitcnt lgkmcnt(0)
	v_pk_mul_f32 v[18:19], v[28:29], v[14:15] op_sel:[0,1] op_sel_hi:[0,0] neg_lo:[0,1]
	v_pk_add_f32 v[10:11], v[20:21], v[10:11] neg_lo:[0,1] neg_hi:[0,1]
	v_pk_fma_f32 v[14:15], v[14:15], v[26:27], v[18:19] op_sel_hi:[1,0,1]
	v_pk_add_f32 v[10:11], v[10:11], v[14:15] neg_lo:[0,1] neg_hi:[0,1]
	v_pk_mul_f32 v[4:5], v[4:5], v[16:17] op_sel:[0,1] op_sel_hi:[0,0] neg_hi:[0,1]
	v_pk_mul_f32 v[14:15], v[28:29], v[12:13] op_sel:[0,1] op_sel_hi:[0,0] neg_hi:[0,1]
	v_cmp_gt_u32_e32 vcc, 8, v0
	v_pk_fma_f32 v[4:5], v[16:17], v[22:23], v[4:5] op_sel_hi:[1,0,1] neg_lo:[1,0,0] neg_hi:[1,0,0]
	v_pk_fma_f32 v[12:13], v[12:13], v[26:27], v[14:15] op_sel_hi:[1,0,1] neg_lo:[1,0,0] neg_hi:[1,0,0]
	s_waitcnt lgkmcnt(0)
	; wave barrier
	ds_write_b64 v8, v[6:7]
	ds_write_b64 v1, v[10:11] offset:512
	ds_write_b64 v1, v[4:5]
	ds_write_b64 v9, v[12:13]
	s_waitcnt lgkmcnt(0)
	; wave barrier
	s_waitcnt lgkmcnt(0)
	s_and_saveexec_b64 s[4:5], vcc
	s_cbranch_execz .LBB53_14
; %bb.9:
	v_or_b32_e32 v6, 8, v0
	v_or_b32_e32 v7, 0x200, v1
	v_cmp_le_i32_e32 vcc, s8, v6
                                        ; implicit-def: $vgpr4_vgpr5
	s_and_saveexec_b64 s[6:7], vcc
	s_xor_b64 s[6:7], exec, s[6:7]
	s_cbranch_execz .LBB53_11
; %bb.10:
	ds_read_b64 v[4:5], v8
	ds_read_b64 v[6:7], v7
	s_waitcnt lgkmcnt(1)
	v_mul_f32_e32 v10, v5, v5
	v_fmac_f32_e32 v10, v4, v4
	v_div_scale_f32 v11, s[8:9], v10, v10, 1.0
	v_rcp_f32_e32 v12, v11
	v_div_scale_f32 v13, vcc, 1.0, v10, 1.0
	s_waitcnt lgkmcnt(0)
	v_pk_mul_f32 v[8:9], v[4:5], v[6:7] op_sel:[1,1] op_sel_hi:[1,0] neg_hi:[0,1]
	v_fma_f32 v14, -v11, v12, 1.0
	v_fmac_f32_e32 v12, v14, v12
	v_mul_f32_e32 v14, v13, v12
	v_fma_f32 v15, -v11, v14, v13
	v_fmac_f32_e32 v14, v15, v12
	v_fma_f32 v11, -v11, v14, v13
	v_div_fmas_f32 v11, v11, v12, v14
	v_div_fixup_f32 v10, v11, v10, 1.0
	v_pk_fma_f32 v[4:5], v[6:7], v[4:5], v[8:9] op_sel_hi:[1,0,1]
	v_pk_mul_f32 v[4:5], v[10:11], v[4:5] op_sel_hi:[0,1]
                                        ; implicit-def: $vgpr8
                                        ; implicit-def: $vgpr9
                                        ; implicit-def: $vgpr7
                                        ; implicit-def: $vgpr6
.LBB53_11:
	s_andn2_saveexec_b64 s[6:7], s[6:7]
	s_cbranch_execz .LBB53_13
; %bb.12:
	ds_read2_b64 v[10:13], v8 offset1:8
	ds_read_b64 v[4:5], v9
	ds_read_b64 v[8:9], v1 offset:64
	s_waitcnt lgkmcnt(2)
	v_pk_mul_f32 v[14:15], v[10:11], v[12:13] op_sel:[1,1] op_sel_hi:[1,0] neg_lo:[0,1]
	v_pk_fma_f32 v[14:15], v[12:13], v[10:11], v[14:15] op_sel_hi:[1,0,1]
	s_waitcnt lgkmcnt(0)
	v_pk_mul_f32 v[16:17], v[8:9], v[4:5] op_sel:[1,1] op_sel_hi:[1,0] neg_lo:[0,1]
	v_pk_fma_f32 v[16:17], v[4:5], v[8:9], v[16:17] op_sel_hi:[1,0,1]
	v_pk_add_f32 v[18:19], v[14:15], v[16:17] neg_lo:[0,1] neg_hi:[0,1]
	v_mul_f32_e32 v0, v19, v19
	v_fmac_f32_e32 v0, v18, v18
	v_div_scale_f32 v20, s[8:9], v0, v0, 1.0
	v_rcp_f32_e32 v21, v20
	ds_read2_b64 v[14:17], v7 offset1:8
	v_fma_f32 v7, -v20, v21, 1.0
	v_fmac_f32_e32 v21, v7, v21
	v_div_scale_f32 v7, vcc, 1.0, v0, 1.0
	v_mul_f32_e32 v22, v7, v21
	v_fma_f32 v23, -v20, v22, v7
	v_fmac_f32_e32 v22, v23, v21
	v_fma_f32 v7, -v20, v22, v7
	v_div_fmas_f32 v7, v7, v21, v22
	s_waitcnt lgkmcnt(0)
	v_pk_mul_f32 v[20:21], v[14:15], v[12:13] op_sel:[1,1] op_sel_hi:[1,0] neg_lo:[0,1]
	v_pk_fma_f32 v[12:13], v[12:13], v[14:15], v[20:21] op_sel_hi:[1,0,1]
	v_pk_mul_f32 v[20:21], v[16:17], v[4:5] op_sel:[1,1] op_sel_hi:[1,0] neg_lo:[0,1]
	v_div_fixup_f32 v7, v7, v0, 1.0
	v_fma_f32 v0, 0, v19, v18
	v_fma_f32 v18, v18, 0, -v19
	v_pk_fma_f32 v[4:5], v[4:5], v[16:17], v[20:21] op_sel_hi:[1,0,1]
	v_mul_f32_e32 v18, v18, v7
	v_pk_add_f32 v[4:5], v[12:13], v[4:5] neg_lo:[0,1] neg_hi:[0,1]
	v_mul_f32_e32 v0, v0, v7
	v_pk_mul_f32 v[12:13], v[18:19], v[4:5] op_sel:[0,1] op_sel_hi:[0,0] neg_lo:[0,1]
	v_pk_fma_f32 v[4:5], v[4:5], v[0:1], v[12:13] op_sel_hi:[1,0,1]
	ds_write_b64 v1, v[4:5] offset:384
	v_pk_mul_f32 v[4:5], v[10:11], v[16:17] op_sel:[1,1] op_sel_hi:[1,0] neg_lo:[0,1]
	v_pk_fma_f32 v[4:5], v[16:17], v[10:11], v[4:5] op_sel_hi:[1,0,1]
	v_pk_mul_f32 v[10:11], v[8:9], v[14:15] op_sel:[1,1] op_sel_hi:[1,0] neg_lo:[0,1]
	v_pk_fma_f32 v[8:9], v[14:15], v[8:9], v[10:11] op_sel_hi:[1,0,1]
	v_pk_add_f32 v[4:5], v[4:5], v[8:9] neg_lo:[0,1] neg_hi:[0,1]
	v_pk_mul_f32 v[8:9], v[18:19], v[4:5] op_sel:[0,1] op_sel_hi:[0,0] neg_lo:[0,1]
	v_pk_fma_f32 v[4:5], v[4:5], v[0:1], v[8:9] op_sel_hi:[1,0,1]
	v_mov_b32_e32 v0, v6
.LBB53_13:
	s_or_b64 exec, exec, s[6:7]
	v_lshlrev_b32_e32 v0, 3, v0
	ds_write_b64 v0, v[4:5] offset:384
.LBB53_14:
	s_or_b64 exec, exec, s[4:5]
	s_waitcnt lgkmcnt(0)
	; wave barrier
	s_waitcnt lgkmcnt(0)
	s_and_saveexec_b64 s[4:5], s[0:1]
	s_cbranch_execz .LBB53_16
; %bb.15:
	ds_read_b64 v[0:1], v1 offset:384
	v_lshlrev_b64 v[2:3], 3, v[2:3]
	v_mov_b32_e32 v4, s3
	v_add_co_u32_e32 v2, vcc, s2, v2
	v_addc_co_u32_e32 v3, vcc, v4, v3, vcc
	s_waitcnt lgkmcnt(0)
	global_store_dwordx2 v[2:3], v[0:1], off
.LBB53_16:
	s_endpgm
	.section	.rodata,"a",@progbits
	.p2align	6, 0x0
	.amdhsa_kernel _ZN9rocsparseL44gtsv_nopivot_strided_batch_pcr_shared_kernelILj16E21rocsparse_complex_numIfEEEviiiPKT0_S5_S5_PS3_
		.amdhsa_group_segment_fixed_size 640
		.amdhsa_private_segment_fixed_size 0
		.amdhsa_kernarg_size 48
		.amdhsa_user_sgpr_count 6
		.amdhsa_user_sgpr_private_segment_buffer 1
		.amdhsa_user_sgpr_dispatch_ptr 0
		.amdhsa_user_sgpr_queue_ptr 0
		.amdhsa_user_sgpr_kernarg_segment_ptr 1
		.amdhsa_user_sgpr_dispatch_id 0
		.amdhsa_user_sgpr_flat_scratch_init 0
		.amdhsa_user_sgpr_kernarg_preload_length 0
		.amdhsa_user_sgpr_kernarg_preload_offset 0
		.amdhsa_user_sgpr_private_segment_size 0
		.amdhsa_uses_dynamic_stack 0
		.amdhsa_system_sgpr_private_segment_wavefront_offset 0
		.amdhsa_system_sgpr_workgroup_id_x 1
		.amdhsa_system_sgpr_workgroup_id_y 0
		.amdhsa_system_sgpr_workgroup_id_z 0
		.amdhsa_system_sgpr_workgroup_info 0
		.amdhsa_system_vgpr_workitem_id 0
		.amdhsa_next_free_vgpr 32
		.amdhsa_next_free_sgpr 10
		.amdhsa_accum_offset 32
		.amdhsa_reserve_vcc 1
		.amdhsa_reserve_flat_scratch 0
		.amdhsa_float_round_mode_32 0
		.amdhsa_float_round_mode_16_64 0
		.amdhsa_float_denorm_mode_32 3
		.amdhsa_float_denorm_mode_16_64 3
		.amdhsa_dx10_clamp 1
		.amdhsa_ieee_mode 1
		.amdhsa_fp16_overflow 0
		.amdhsa_tg_split 0
		.amdhsa_exception_fp_ieee_invalid_op 0
		.amdhsa_exception_fp_denorm_src 0
		.amdhsa_exception_fp_ieee_div_zero 0
		.amdhsa_exception_fp_ieee_overflow 0
		.amdhsa_exception_fp_ieee_underflow 0
		.amdhsa_exception_fp_ieee_inexact 0
		.amdhsa_exception_int_div_zero 0
	.end_amdhsa_kernel
	.section	.text._ZN9rocsparseL44gtsv_nopivot_strided_batch_pcr_shared_kernelILj16E21rocsparse_complex_numIfEEEviiiPKT0_S5_S5_PS3_,"axG",@progbits,_ZN9rocsparseL44gtsv_nopivot_strided_batch_pcr_shared_kernelILj16E21rocsparse_complex_numIfEEEviiiPKT0_S5_S5_PS3_,comdat
.Lfunc_end53:
	.size	_ZN9rocsparseL44gtsv_nopivot_strided_batch_pcr_shared_kernelILj16E21rocsparse_complex_numIfEEEviiiPKT0_S5_S5_PS3_, .Lfunc_end53-_ZN9rocsparseL44gtsv_nopivot_strided_batch_pcr_shared_kernelILj16E21rocsparse_complex_numIfEEEviiiPKT0_S5_S5_PS3_
                                        ; -- End function
	.section	.AMDGPU.csdata,"",@progbits
; Kernel info:
; codeLenInByte = 2464
; NumSgprs: 14
; NumVgprs: 32
; NumAgprs: 0
; TotalNumVgprs: 32
; ScratchSize: 0
; MemoryBound: 0
; FloatMode: 240
; IeeeMode: 1
; LDSByteSize: 640 bytes/workgroup (compile time only)
; SGPRBlocks: 1
; VGPRBlocks: 3
; NumSGPRsForWavesPerEU: 14
; NumVGPRsForWavesPerEU: 32
; AccumOffset: 32
; Occupancy: 8
; WaveLimiterHint : 0
; COMPUTE_PGM_RSRC2:SCRATCH_EN: 0
; COMPUTE_PGM_RSRC2:USER_SGPR: 6
; COMPUTE_PGM_RSRC2:TRAP_HANDLER: 0
; COMPUTE_PGM_RSRC2:TGID_X_EN: 1
; COMPUTE_PGM_RSRC2:TGID_Y_EN: 0
; COMPUTE_PGM_RSRC2:TGID_Z_EN: 0
; COMPUTE_PGM_RSRC2:TIDIG_COMP_CNT: 0
; COMPUTE_PGM_RSRC3_GFX90A:ACCUM_OFFSET: 7
; COMPUTE_PGM_RSRC3_GFX90A:TG_SPLIT: 0
	.section	.text._ZN9rocsparseL44gtsv_nopivot_strided_batch_pcr_shared_kernelILj32E21rocsparse_complex_numIfEEEviiiPKT0_S5_S5_PS3_,"axG",@progbits,_ZN9rocsparseL44gtsv_nopivot_strided_batch_pcr_shared_kernelILj32E21rocsparse_complex_numIfEEEviiiPKT0_S5_S5_PS3_,comdat
	.globl	_ZN9rocsparseL44gtsv_nopivot_strided_batch_pcr_shared_kernelILj32E21rocsparse_complex_numIfEEEviiiPKT0_S5_S5_PS3_ ; -- Begin function _ZN9rocsparseL44gtsv_nopivot_strided_batch_pcr_shared_kernelILj32E21rocsparse_complex_numIfEEEviiiPKT0_S5_S5_PS3_
	.p2align	8
	.type	_ZN9rocsparseL44gtsv_nopivot_strided_batch_pcr_shared_kernelILj32E21rocsparse_complex_numIfEEEviiiPKT0_S5_S5_PS3_,@function
_ZN9rocsparseL44gtsv_nopivot_strided_batch_pcr_shared_kernelILj32E21rocsparse_complex_numIfEEEviiiPKT0_S5_S5_PS3_: ; @_ZN9rocsparseL44gtsv_nopivot_strided_batch_pcr_shared_kernelILj32E21rocsparse_complex_numIfEEEviiiPKT0_S5_S5_PS3_
; %bb.0:
	s_load_dword s0, s[4:5], 0x8
	s_load_dword s8, s[4:5], 0x0
	v_mov_b32_e32 v4, 0
	v_mov_b32_e32 v6, 0
	;; [unrolled: 1-line block ×3, first 2 shown]
	s_waitcnt lgkmcnt(0)
	s_mul_i32 s6, s6, s0
	v_add_u32_e32 v2, s6, v0
	v_cmp_gt_i32_e64 s[0:1], s8, v0
	v_ashrrev_i32_e32 v3, 31, v2
	s_and_saveexec_b64 s[2:3], s[0:1]
	s_cbranch_execz .LBB54_2
; %bb.1:
	s_load_dwordx2 s[6:7], s[4:5], 0x10
	v_lshlrev_b64 v[6:7], 3, v[2:3]
	s_waitcnt lgkmcnt(0)
	v_mov_b32_e32 v1, s7
	v_add_co_u32_e32 v6, vcc, s6, v6
	v_addc_co_u32_e32 v7, vcc, v1, v7, vcc
	global_load_dwordx2 v[6:7], v[6:7], off
.LBB54_2:
	s_or_b64 exec, exec, s[2:3]
	v_lshlrev_b32_e32 v1, 3, v0
	v_mov_b32_e32 v5, 0
	s_waitcnt vmcnt(0)
	ds_write_b64 v1, v[6:7]
	s_and_saveexec_b64 s[2:3], s[0:1]
	s_cbranch_execz .LBB54_4
; %bb.3:
	s_load_dwordx2 s[6:7], s[4:5], 0x18
	v_lshlrev_b64 v[4:5], 3, v[2:3]
	s_waitcnt lgkmcnt(0)
	v_mov_b32_e32 v6, s7
	v_add_co_u32_e32 v4, vcc, s6, v4
	v_addc_co_u32_e32 v5, vcc, v6, v5, vcc
	global_load_dwordx2 v[4:5], v[4:5], off
.LBB54_4:
	s_or_b64 exec, exec, s[2:3]
	s_load_dwordx2 s[2:3], s[4:5], 0x28
	s_waitcnt vmcnt(0)
	ds_write_b64 v1, v[4:5] offset:256
	v_mov_b32_e32 v4, 0
	v_mov_b32_e32 v6, 0
	;; [unrolled: 1-line block ×3, first 2 shown]
	s_and_saveexec_b64 s[6:7], s[0:1]
	s_cbranch_execz .LBB54_6
; %bb.5:
	s_load_dwordx2 s[4:5], s[4:5], 0x20
	v_lshlrev_b64 v[6:7], 3, v[2:3]
	s_waitcnt lgkmcnt(0)
	v_mov_b32_e32 v5, s5
	v_add_co_u32_e32 v6, vcc, s4, v6
	v_addc_co_u32_e32 v7, vcc, v5, v7, vcc
	global_load_dwordx2 v[6:7], v[6:7], off
.LBB54_6:
	s_or_b64 exec, exec, s[6:7]
	v_or_b32_e32 v8, 0x100, v1
	v_or_b32_e32 v9, 0x200, v1
	v_mov_b32_e32 v5, 0
	s_waitcnt vmcnt(0)
	ds_write_b64 v1, v[6:7] offset:512
	s_and_saveexec_b64 s[4:5], s[0:1]
	s_cbranch_execz .LBB54_8
; %bb.7:
	v_lshlrev_b64 v[4:5], 3, v[2:3]
	s_waitcnt lgkmcnt(0)
	v_mov_b32_e32 v6, s3
	v_add_co_u32_e32 v4, vcc, s2, v4
	v_addc_co_u32_e32 v5, vcc, v6, v5, vcc
	global_load_dwordx2 v[4:5], v[4:5], off
.LBB54_8:
	s_or_b64 exec, exec, s[4:5]
	s_waitcnt vmcnt(0)
	ds_write_b64 v1, v[4:5] offset:1024
	v_max_u32_e32 v4, 1, v0
	v_lshlrev_b32_e32 v18, 3, v4
	s_waitcnt lgkmcnt(0)
	; wave barrier
	s_waitcnt lgkmcnt(0)
	ds_read2_b64 v[4:7], v18 offset0:31 offset1:63
	s_add_i32 s4, s8, -1
	v_mov_b32_e32 v23, s4
	v_add_u32_e32 v10, 1, v0
	v_cmp_gt_i32_e32 vcc, s8, v10
	s_waitcnt lgkmcnt(0)
	v_mul_f32_e32 v11, v5, v5
	v_fmac_f32_e32 v11, v4, v4
	v_div_scale_f32 v12, s[4:5], v11, v11, 1.0
	v_rcp_f32_e32 v13, v12
	v_cndmask_b32_e32 v10, v23, v10, vcc
	v_add_u32_e32 v16, -8, v18
	v_lshlrev_b32_e32 v27, 3, v10
	v_fma_f32 v17, -v12, v13, 1.0
	v_fmac_f32_e32 v13, v17, v13
	v_div_scale_f32 v17, vcc, 1.0, v11, 1.0
	v_mul_f32_e32 v19, v17, v13
	v_fma_f32 v20, -v12, v19, v17
	v_fmac_f32_e32 v19, v20, v13
	v_fma_f32 v12, -v12, v19, v17
	v_div_fmas_f32 v12, v12, v13, v19
	ds_read_b64 v[14:15], v1
	v_div_fixup_f32 v24, v12, v11, 1.0
	ds_read2_b64 v[10:13], v27 offset1:32
	ds_read_b64 v[16:17], v16
	ds_read_b64 v[18:19], v18 offset:1016
	ds_read_b64 v[20:21], v1 offset:1024
	s_waitcnt lgkmcnt(3)
	v_mul_f32_e32 v25, v13, v13
	v_fmac_f32_e32 v25, v12, v12
	v_div_scale_f32 v26, s[4:5], v25, v25, 1.0
	v_rcp_f32_e32 v28, v26
	v_mul_f32_e32 v22, v5, v15
	v_mul_f32_e64 v5, v5, -v14
	v_fmac_f32_e32 v5, v15, v4
	v_fmac_f32_e32 v22, v14, v4
	v_mul_f32_e32 v4, v5, v24
	v_fma_f32 v5, -v26, v28, 1.0
	v_fmac_f32_e32 v28, v5, v28
	v_div_scale_f32 v5, vcc, 1.0, v25, 1.0
	v_mul_f32_e32 v22, v24, v22
	v_mul_f32_e32 v24, v5, v28
	v_fma_f32 v14, -v26, v24, v5
	v_fmac_f32_e32 v24, v14, v28
	ds_read_b64 v[14:15], v9
	v_fma_f32 v5, -v26, v24, v5
	v_div_fmas_f32 v5, v5, v28, v24
	v_div_fixup_f32 v5, v5, v25, 1.0
	ds_read_b64 v[24:25], v8
	s_waitcnt lgkmcnt(1)
	v_mul_f32_e32 v26, v13, v15
	v_mul_f32_e64 v13, v13, -v14
	v_fmac_f32_e32 v13, v15, v12
	v_fmac_f32_e32 v26, v14, v12
	v_mul_f32_e32 v28, v13, v5
	ds_read2st64_b64 v[12:15], v27 offset0:1 offset1:2
	v_pk_mul_f32 v[30:31], v[4:5], v[6:7] op_sel:[0,1] op_sel_hi:[0,0] neg_lo:[0,1]
	v_pk_fma_f32 v[6:7], v[6:7], v[22:23], v[30:31] op_sel_hi:[1,0,1]
	v_mul_f32_e32 v26, v5, v26
	s_waitcnt lgkmcnt(1)
	v_pk_add_f32 v[6:7], v[24:25], v[6:7] neg_lo:[0,1] neg_hi:[0,1]
	v_pk_mul_f32 v[24:25], v[28:29], v[10:11] op_sel:[0,1] op_sel_hi:[0,0] neg_lo:[0,1]
	v_pk_fma_f32 v[10:11], v[10:11], v[26:27], v[24:25] op_sel_hi:[1,0,1]
	v_pk_add_f32 v[6:7], v[6:7], v[10:11] neg_lo:[0,1] neg_hi:[0,1]
	v_pk_mul_f32 v[10:11], v[4:5], v[18:19] op_sel:[0,1] op_sel_hi:[0,0] neg_lo:[0,1]
	v_pk_fma_f32 v[10:11], v[18:19], v[22:23], v[10:11] op_sel_hi:[1,0,1]
	s_waitcnt lgkmcnt(0)
	v_pk_mul_f32 v[18:19], v[28:29], v[14:15] op_sel:[0,1] op_sel_hi:[0,0] neg_lo:[0,1]
	v_pk_add_f32 v[10:11], v[20:21], v[10:11] neg_lo:[0,1] neg_hi:[0,1]
	v_pk_fma_f32 v[14:15], v[14:15], v[26:27], v[18:19] op_sel_hi:[1,0,1]
	v_pk_mul_f32 v[4:5], v[4:5], v[16:17] op_sel:[0,1] op_sel_hi:[0,0] neg_hi:[0,1]
	v_pk_add_f32 v[10:11], v[10:11], v[14:15] neg_lo:[0,1] neg_hi:[0,1]
	v_pk_fma_f32 v[4:5], v[16:17], v[22:23], v[4:5] op_sel_hi:[1,0,1] neg_lo:[1,0,0] neg_hi:[1,0,0]
	v_pk_mul_f32 v[14:15], v[28:29], v[12:13] op_sel:[0,1] op_sel_hi:[0,0] neg_hi:[0,1]
	v_pk_fma_f32 v[12:13], v[12:13], v[26:27], v[14:15] op_sel_hi:[1,0,1] neg_lo:[1,0,0] neg_hi:[1,0,0]
	s_waitcnt lgkmcnt(0)
	; wave barrier
	ds_write_b64 v8, v[6:7]
	ds_write_b64 v1, v[10:11] offset:1024
	ds_write_b64 v1, v[4:5]
	ds_write_b64 v9, v[12:13]
	v_max_u32_e32 v4, 2, v0
	v_lshlrev_b32_e32 v18, 3, v4
	s_waitcnt lgkmcnt(0)
	; wave barrier
	s_waitcnt lgkmcnt(0)
	ds_read2_b64 v[4:7], v18 offset0:30 offset1:62
	v_add_u32_e32 v10, 2, v0
	v_cmp_gt_i32_e32 vcc, s8, v10
	v_cndmask_b32_e32 v10, v23, v10, vcc
	v_add_u32_e32 v16, -16, v18
	s_waitcnt lgkmcnt(0)
	v_mul_f32_e32 v11, v5, v5
	v_fmac_f32_e32 v11, v4, v4
	v_div_scale_f32 v12, s[4:5], v11, v11, 1.0
	v_rcp_f32_e32 v13, v12
	v_lshlrev_b32_e32 v27, 3, v10
	ds_read_b64 v[14:15], v1
	v_fma_f32 v17, -v12, v13, 1.0
	v_fmac_f32_e32 v13, v17, v13
	v_div_scale_f32 v17, vcc, 1.0, v11, 1.0
	v_mul_f32_e32 v19, v17, v13
	v_fma_f32 v20, -v12, v19, v17
	v_fmac_f32_e32 v19, v20, v13
	v_fma_f32 v12, -v12, v19, v17
	v_div_fmas_f32 v12, v12, v13, v19
	v_div_fixup_f32 v24, v12, v11, 1.0
	ds_read2_b64 v[10:13], v27 offset1:32
	ds_read_b64 v[16:17], v16
	ds_read_b64 v[18:19], v18 offset:1008
	ds_read_b64 v[20:21], v1 offset:1024
	s_waitcnt lgkmcnt(4)
	v_mul_f32_e32 v22, v5, v15
	s_waitcnt lgkmcnt(3)
	v_mul_f32_e32 v25, v13, v13
	v_fmac_f32_e32 v25, v12, v12
	v_div_scale_f32 v26, s[4:5], v25, v25, 1.0
	v_rcp_f32_e32 v28, v26
	v_mul_f32_e64 v5, v5, -v14
	v_fmac_f32_e32 v5, v15, v4
	v_fmac_f32_e32 v22, v14, v4
	v_mul_f32_e32 v4, v5, v24
	v_fma_f32 v5, -v26, v28, 1.0
	v_fmac_f32_e32 v28, v5, v28
	v_div_scale_f32 v5, vcc, 1.0, v25, 1.0
	v_mul_f32_e32 v22, v24, v22
	v_mul_f32_e32 v24, v5, v28
	v_fma_f32 v14, -v26, v24, v5
	v_fmac_f32_e32 v24, v14, v28
	ds_read_b64 v[14:15], v9
	v_fma_f32 v5, -v26, v24, v5
	v_div_fmas_f32 v5, v5, v28, v24
	v_div_fixup_f32 v5, v5, v25, 1.0
	ds_read_b64 v[24:25], v8
	s_waitcnt lgkmcnt(1)
	v_mul_f32_e32 v26, v13, v15
	v_mul_f32_e64 v13, v13, -v14
	v_fmac_f32_e32 v13, v15, v12
	v_fmac_f32_e32 v26, v14, v12
	v_mul_f32_e32 v28, v13, v5
	ds_read2st64_b64 v[12:15], v27 offset0:1 offset1:2
	v_pk_mul_f32 v[30:31], v[4:5], v[6:7] op_sel:[0,1] op_sel_hi:[0,0] neg_lo:[0,1]
	v_pk_fma_f32 v[6:7], v[6:7], v[22:23], v[30:31] op_sel_hi:[1,0,1]
	v_mul_f32_e32 v26, v5, v26
	s_waitcnt lgkmcnt(1)
	v_pk_add_f32 v[6:7], v[24:25], v[6:7] neg_lo:[0,1] neg_hi:[0,1]
	v_pk_mul_f32 v[24:25], v[28:29], v[10:11] op_sel:[0,1] op_sel_hi:[0,0] neg_lo:[0,1]
	v_pk_fma_f32 v[10:11], v[10:11], v[26:27], v[24:25] op_sel_hi:[1,0,1]
	v_pk_add_f32 v[6:7], v[6:7], v[10:11] neg_lo:[0,1] neg_hi:[0,1]
	v_pk_mul_f32 v[10:11], v[4:5], v[18:19] op_sel:[0,1] op_sel_hi:[0,0] neg_lo:[0,1]
	v_pk_fma_f32 v[10:11], v[18:19], v[22:23], v[10:11] op_sel_hi:[1,0,1]
	s_waitcnt lgkmcnt(0)
	v_pk_mul_f32 v[18:19], v[28:29], v[14:15] op_sel:[0,1] op_sel_hi:[0,0] neg_lo:[0,1]
	v_pk_add_f32 v[10:11], v[20:21], v[10:11] neg_lo:[0,1] neg_hi:[0,1]
	v_pk_fma_f32 v[14:15], v[14:15], v[26:27], v[18:19] op_sel_hi:[1,0,1]
	v_pk_mul_f32 v[4:5], v[4:5], v[16:17] op_sel:[0,1] op_sel_hi:[0,0] neg_hi:[0,1]
	v_pk_add_f32 v[10:11], v[10:11], v[14:15] neg_lo:[0,1] neg_hi:[0,1]
	v_pk_fma_f32 v[4:5], v[16:17], v[22:23], v[4:5] op_sel_hi:[1,0,1] neg_lo:[1,0,0] neg_hi:[1,0,0]
	v_pk_mul_f32 v[14:15], v[28:29], v[12:13] op_sel:[0,1] op_sel_hi:[0,0] neg_hi:[0,1]
	v_pk_fma_f32 v[12:13], v[12:13], v[26:27], v[14:15] op_sel_hi:[1,0,1] neg_lo:[1,0,0] neg_hi:[1,0,0]
	s_waitcnt lgkmcnt(0)
	; wave barrier
	ds_write_b64 v8, v[6:7]
	ds_write_b64 v1, v[10:11] offset:1024
	ds_write_b64 v1, v[4:5]
	ds_write_b64 v9, v[12:13]
	v_max_u32_e32 v4, 4, v0
	v_lshlrev_b32_e32 v18, 3, v4
	s_waitcnt lgkmcnt(0)
	; wave barrier
	s_waitcnt lgkmcnt(0)
	ds_read2_b64 v[4:7], v18 offset0:28 offset1:60
	v_add_u32_e32 v10, 4, v0
	v_cmp_gt_i32_e32 vcc, s8, v10
	v_cndmask_b32_e32 v10, v23, v10, vcc
	v_subrev_u32_e32 v16, 32, v18
	s_waitcnt lgkmcnt(0)
	v_mul_f32_e32 v11, v5, v5
	v_fmac_f32_e32 v11, v4, v4
	v_div_scale_f32 v12, s[4:5], v11, v11, 1.0
	v_rcp_f32_e32 v13, v12
	v_lshlrev_b32_e32 v27, 3, v10
	ds_read_b64 v[14:15], v1
	v_fma_f32 v17, -v12, v13, 1.0
	v_fmac_f32_e32 v13, v17, v13
	v_div_scale_f32 v17, vcc, 1.0, v11, 1.0
	v_mul_f32_e32 v19, v17, v13
	v_fma_f32 v20, -v12, v19, v17
	v_fmac_f32_e32 v19, v20, v13
	v_fma_f32 v12, -v12, v19, v17
	v_div_fmas_f32 v12, v12, v13, v19
	v_div_fixup_f32 v24, v12, v11, 1.0
	ds_read2_b64 v[10:13], v27 offset1:32
	ds_read_b64 v[16:17], v16
	ds_read_b64 v[18:19], v18 offset:992
	ds_read_b64 v[20:21], v1 offset:1024
	s_waitcnt lgkmcnt(4)
	v_mul_f32_e32 v22, v5, v15
	s_waitcnt lgkmcnt(3)
	v_mul_f32_e32 v25, v13, v13
	v_fmac_f32_e32 v25, v12, v12
	v_div_scale_f32 v26, s[4:5], v25, v25, 1.0
	v_rcp_f32_e32 v28, v26
	v_mul_f32_e64 v5, v5, -v14
	v_fmac_f32_e32 v5, v15, v4
	v_fmac_f32_e32 v22, v14, v4
	v_mul_f32_e32 v4, v5, v24
	v_fma_f32 v5, -v26, v28, 1.0
	v_fmac_f32_e32 v28, v5, v28
	v_div_scale_f32 v5, vcc, 1.0, v25, 1.0
	v_mul_f32_e32 v22, v24, v22
	v_mul_f32_e32 v24, v5, v28
	v_fma_f32 v14, -v26, v24, v5
	v_fmac_f32_e32 v24, v14, v28
	ds_read_b64 v[14:15], v9
	v_fma_f32 v5, -v26, v24, v5
	v_div_fmas_f32 v5, v5, v28, v24
	v_div_fixup_f32 v5, v5, v25, 1.0
	ds_read_b64 v[24:25], v8
	s_waitcnt lgkmcnt(1)
	v_mul_f32_e32 v26, v13, v15
	v_mul_f32_e64 v13, v13, -v14
	v_fmac_f32_e32 v13, v15, v12
	v_fmac_f32_e32 v26, v14, v12
	v_mul_f32_e32 v28, v13, v5
	ds_read2st64_b64 v[12:15], v27 offset0:1 offset1:2
	v_pk_mul_f32 v[30:31], v[4:5], v[6:7] op_sel:[0,1] op_sel_hi:[0,0] neg_lo:[0,1]
	v_pk_fma_f32 v[6:7], v[6:7], v[22:23], v[30:31] op_sel_hi:[1,0,1]
	v_mul_f32_e32 v26, v5, v26
	s_waitcnt lgkmcnt(1)
	v_pk_add_f32 v[6:7], v[24:25], v[6:7] neg_lo:[0,1] neg_hi:[0,1]
	v_pk_mul_f32 v[24:25], v[28:29], v[10:11] op_sel:[0,1] op_sel_hi:[0,0] neg_lo:[0,1]
	v_pk_fma_f32 v[10:11], v[10:11], v[26:27], v[24:25] op_sel_hi:[1,0,1]
	v_pk_add_f32 v[6:7], v[6:7], v[10:11] neg_lo:[0,1] neg_hi:[0,1]
	v_pk_mul_f32 v[10:11], v[4:5], v[18:19] op_sel:[0,1] op_sel_hi:[0,0] neg_lo:[0,1]
	v_pk_fma_f32 v[10:11], v[18:19], v[22:23], v[10:11] op_sel_hi:[1,0,1]
	s_waitcnt lgkmcnt(0)
	v_pk_mul_f32 v[18:19], v[28:29], v[14:15] op_sel:[0,1] op_sel_hi:[0,0] neg_lo:[0,1]
	v_pk_add_f32 v[10:11], v[20:21], v[10:11] neg_lo:[0,1] neg_hi:[0,1]
	v_pk_fma_f32 v[14:15], v[14:15], v[26:27], v[18:19] op_sel_hi:[1,0,1]
	v_pk_mul_f32 v[4:5], v[4:5], v[16:17] op_sel:[0,1] op_sel_hi:[0,0] neg_hi:[0,1]
	v_pk_add_f32 v[10:11], v[10:11], v[14:15] neg_lo:[0,1] neg_hi:[0,1]
	v_pk_fma_f32 v[4:5], v[16:17], v[22:23], v[4:5] op_sel_hi:[1,0,1] neg_lo:[1,0,0] neg_hi:[1,0,0]
	v_pk_mul_f32 v[14:15], v[28:29], v[12:13] op_sel:[0,1] op_sel_hi:[0,0] neg_hi:[0,1]
	v_pk_fma_f32 v[12:13], v[12:13], v[26:27], v[14:15] op_sel_hi:[1,0,1] neg_lo:[1,0,0] neg_hi:[1,0,0]
	s_waitcnt lgkmcnt(0)
	; wave barrier
	ds_write_b64 v8, v[6:7]
	ds_write_b64 v1, v[10:11] offset:1024
	ds_write_b64 v1, v[4:5]
	ds_write_b64 v9, v[12:13]
	v_max_u32_e32 v4, 8, v0
	v_lshlrev_b32_e32 v18, 3, v4
	s_waitcnt lgkmcnt(0)
	; wave barrier
	s_waitcnt lgkmcnt(0)
	ds_read2_b64 v[4:7], v18 offset0:24 offset1:56
	v_add_u32_e32 v10, 8, v0
	v_cmp_gt_i32_e32 vcc, s8, v10
	v_cndmask_b32_e32 v10, v23, v10, vcc
	v_subrev_u32_e32 v16, 64, v18
	s_waitcnt lgkmcnt(0)
	v_mul_f32_e32 v11, v5, v5
	v_fmac_f32_e32 v11, v4, v4
	v_div_scale_f32 v12, s[4:5], v11, v11, 1.0
	v_rcp_f32_e32 v13, v12
	v_lshlrev_b32_e32 v27, 3, v10
	ds_read_b64 v[14:15], v1
	v_fma_f32 v17, -v12, v13, 1.0
	v_fmac_f32_e32 v13, v17, v13
	v_div_scale_f32 v17, vcc, 1.0, v11, 1.0
	v_mul_f32_e32 v19, v17, v13
	v_fma_f32 v20, -v12, v19, v17
	v_fmac_f32_e32 v19, v20, v13
	v_fma_f32 v12, -v12, v19, v17
	v_div_fmas_f32 v12, v12, v13, v19
	v_div_fixup_f32 v23, v12, v11, 1.0
	ds_read2_b64 v[10:13], v27 offset1:32
	ds_read_b64 v[16:17], v16
	ds_read_b64 v[18:19], v18 offset:960
	ds_read_b64 v[20:21], v1 offset:1024
	s_waitcnt lgkmcnt(4)
	v_mul_f32_e32 v22, v5, v15
	s_waitcnt lgkmcnt(3)
	v_mul_f32_e32 v24, v13, v13
	v_fmac_f32_e32 v24, v12, v12
	v_div_scale_f32 v25, s[4:5], v24, v24, 1.0
	v_rcp_f32_e32 v26, v25
	v_mul_f32_e64 v5, v5, -v14
	v_fmac_f32_e32 v5, v15, v4
	v_fmac_f32_e32 v22, v14, v4
	v_mul_f32_e32 v4, v5, v23
	v_fma_f32 v5, -v25, v26, 1.0
	v_fmac_f32_e32 v26, v5, v26
	v_div_scale_f32 v5, vcc, 1.0, v24, 1.0
	v_mul_f32_e32 v22, v23, v22
	v_mul_f32_e32 v23, v5, v26
	v_fma_f32 v14, -v25, v23, v5
	v_fmac_f32_e32 v23, v14, v26
	ds_read_b64 v[14:15], v9
	v_fma_f32 v5, -v25, v23, v5
	v_div_fmas_f32 v5, v5, v26, v23
	v_div_fixup_f32 v5, v5, v24, 1.0
	ds_read_b64 v[24:25], v8
	s_waitcnt lgkmcnt(1)
	v_mul_f32_e32 v23, v13, v15
	v_mul_f32_e64 v13, v13, -v14
	v_fmac_f32_e32 v13, v15, v12
	v_fmac_f32_e32 v23, v14, v12
	v_mul_f32_e32 v28, v13, v5
	ds_read2st64_b64 v[12:15], v27 offset0:1 offset1:2
	v_pk_mul_f32 v[30:31], v[4:5], v[6:7] op_sel:[0,1] op_sel_hi:[0,0] neg_lo:[0,1]
	v_pk_fma_f32 v[6:7], v[6:7], v[22:23], v[30:31] op_sel_hi:[1,0,1]
	v_mul_f32_e32 v26, v5, v23
	s_waitcnt lgkmcnt(1)
	v_pk_add_f32 v[6:7], v[24:25], v[6:7] neg_lo:[0,1] neg_hi:[0,1]
	v_pk_mul_f32 v[24:25], v[28:29], v[10:11] op_sel:[0,1] op_sel_hi:[0,0] neg_lo:[0,1]
	v_pk_fma_f32 v[10:11], v[10:11], v[26:27], v[24:25] op_sel_hi:[1,0,1]
	v_pk_add_f32 v[6:7], v[6:7], v[10:11] neg_lo:[0,1] neg_hi:[0,1]
	v_pk_mul_f32 v[10:11], v[4:5], v[18:19] op_sel:[0,1] op_sel_hi:[0,0] neg_lo:[0,1]
	v_pk_fma_f32 v[10:11], v[18:19], v[22:23], v[10:11] op_sel_hi:[1,0,1]
	s_waitcnt lgkmcnt(0)
	v_pk_mul_f32 v[18:19], v[28:29], v[14:15] op_sel:[0,1] op_sel_hi:[0,0] neg_lo:[0,1]
	v_pk_add_f32 v[10:11], v[20:21], v[10:11] neg_lo:[0,1] neg_hi:[0,1]
	v_pk_fma_f32 v[14:15], v[14:15], v[26:27], v[18:19] op_sel_hi:[1,0,1]
	v_pk_add_f32 v[10:11], v[10:11], v[14:15] neg_lo:[0,1] neg_hi:[0,1]
	v_pk_mul_f32 v[4:5], v[4:5], v[16:17] op_sel:[0,1] op_sel_hi:[0,0] neg_hi:[0,1]
	v_pk_mul_f32 v[14:15], v[28:29], v[12:13] op_sel:[0,1] op_sel_hi:[0,0] neg_hi:[0,1]
	v_cmp_gt_u32_e32 vcc, 16, v0
	v_pk_fma_f32 v[4:5], v[16:17], v[22:23], v[4:5] op_sel_hi:[1,0,1] neg_lo:[1,0,0] neg_hi:[1,0,0]
	v_pk_fma_f32 v[12:13], v[12:13], v[26:27], v[14:15] op_sel_hi:[1,0,1] neg_lo:[1,0,0] neg_hi:[1,0,0]
	s_waitcnt lgkmcnt(0)
	; wave barrier
	ds_write_b64 v8, v[6:7]
	ds_write_b64 v1, v[10:11] offset:1024
	ds_write_b64 v1, v[4:5]
	ds_write_b64 v9, v[12:13]
	s_waitcnt lgkmcnt(0)
	; wave barrier
	s_waitcnt lgkmcnt(0)
	s_and_saveexec_b64 s[4:5], vcc
	s_cbranch_execz .LBB54_14
; %bb.9:
	v_or_b32_e32 v6, 16, v0
	v_or_b32_e32 v7, 0x400, v1
	v_cmp_le_i32_e32 vcc, s8, v6
                                        ; implicit-def: $vgpr4_vgpr5
	s_and_saveexec_b64 s[6:7], vcc
	s_xor_b64 s[6:7], exec, s[6:7]
	s_cbranch_execz .LBB54_11
; %bb.10:
	ds_read_b64 v[4:5], v8
	ds_read_b64 v[6:7], v7
	s_waitcnt lgkmcnt(1)
	v_mul_f32_e32 v10, v5, v5
	v_fmac_f32_e32 v10, v4, v4
	v_div_scale_f32 v11, s[8:9], v10, v10, 1.0
	v_rcp_f32_e32 v12, v11
	v_div_scale_f32 v13, vcc, 1.0, v10, 1.0
	s_waitcnt lgkmcnt(0)
	v_pk_mul_f32 v[8:9], v[4:5], v[6:7] op_sel:[1,1] op_sel_hi:[1,0] neg_hi:[0,1]
	v_fma_f32 v14, -v11, v12, 1.0
	v_fmac_f32_e32 v12, v14, v12
	v_mul_f32_e32 v14, v13, v12
	v_fma_f32 v15, -v11, v14, v13
	v_fmac_f32_e32 v14, v15, v12
	v_fma_f32 v11, -v11, v14, v13
	v_div_fmas_f32 v11, v11, v12, v14
	v_div_fixup_f32 v10, v11, v10, 1.0
	v_pk_fma_f32 v[4:5], v[6:7], v[4:5], v[8:9] op_sel_hi:[1,0,1]
	v_pk_mul_f32 v[4:5], v[10:11], v[4:5] op_sel_hi:[0,1]
                                        ; implicit-def: $vgpr8
                                        ; implicit-def: $vgpr9
                                        ; implicit-def: $vgpr7
                                        ; implicit-def: $vgpr6
.LBB54_11:
	s_andn2_saveexec_b64 s[6:7], s[6:7]
	s_cbranch_execz .LBB54_13
; %bb.12:
	ds_read2_b64 v[10:13], v8 offset1:16
	ds_read_b64 v[4:5], v9
	ds_read_b64 v[8:9], v1 offset:128
	s_waitcnt lgkmcnt(2)
	v_pk_mul_f32 v[14:15], v[10:11], v[12:13] op_sel:[1,1] op_sel_hi:[1,0] neg_lo:[0,1]
	v_pk_fma_f32 v[14:15], v[12:13], v[10:11], v[14:15] op_sel_hi:[1,0,1]
	s_waitcnt lgkmcnt(0)
	v_pk_mul_f32 v[16:17], v[8:9], v[4:5] op_sel:[1,1] op_sel_hi:[1,0] neg_lo:[0,1]
	v_pk_fma_f32 v[16:17], v[4:5], v[8:9], v[16:17] op_sel_hi:[1,0,1]
	v_pk_add_f32 v[18:19], v[14:15], v[16:17] neg_lo:[0,1] neg_hi:[0,1]
	v_mul_f32_e32 v0, v19, v19
	v_fmac_f32_e32 v0, v18, v18
	v_div_scale_f32 v20, s[8:9], v0, v0, 1.0
	v_rcp_f32_e32 v21, v20
	ds_read2_b64 v[14:17], v7 offset1:16
	v_fma_f32 v7, -v20, v21, 1.0
	v_fmac_f32_e32 v21, v7, v21
	v_div_scale_f32 v7, vcc, 1.0, v0, 1.0
	v_mul_f32_e32 v22, v7, v21
	v_fma_f32 v23, -v20, v22, v7
	v_fmac_f32_e32 v22, v23, v21
	v_fma_f32 v7, -v20, v22, v7
	v_div_fmas_f32 v7, v7, v21, v22
	s_waitcnt lgkmcnt(0)
	v_pk_mul_f32 v[20:21], v[14:15], v[12:13] op_sel:[1,1] op_sel_hi:[1,0] neg_lo:[0,1]
	v_pk_fma_f32 v[12:13], v[12:13], v[14:15], v[20:21] op_sel_hi:[1,0,1]
	v_pk_mul_f32 v[20:21], v[16:17], v[4:5] op_sel:[1,1] op_sel_hi:[1,0] neg_lo:[0,1]
	v_div_fixup_f32 v7, v7, v0, 1.0
	v_fma_f32 v0, 0, v19, v18
	v_fma_f32 v18, v18, 0, -v19
	v_pk_fma_f32 v[4:5], v[4:5], v[16:17], v[20:21] op_sel_hi:[1,0,1]
	v_mul_f32_e32 v18, v18, v7
	v_pk_add_f32 v[4:5], v[12:13], v[4:5] neg_lo:[0,1] neg_hi:[0,1]
	v_mul_f32_e32 v0, v0, v7
	v_pk_mul_f32 v[12:13], v[18:19], v[4:5] op_sel:[0,1] op_sel_hi:[0,0] neg_lo:[0,1]
	v_pk_fma_f32 v[4:5], v[4:5], v[0:1], v[12:13] op_sel_hi:[1,0,1]
	ds_write_b64 v1, v[4:5] offset:768
	v_pk_mul_f32 v[4:5], v[10:11], v[16:17] op_sel:[1,1] op_sel_hi:[1,0] neg_lo:[0,1]
	v_pk_fma_f32 v[4:5], v[16:17], v[10:11], v[4:5] op_sel_hi:[1,0,1]
	v_pk_mul_f32 v[10:11], v[8:9], v[14:15] op_sel:[1,1] op_sel_hi:[1,0] neg_lo:[0,1]
	v_pk_fma_f32 v[8:9], v[14:15], v[8:9], v[10:11] op_sel_hi:[1,0,1]
	v_pk_add_f32 v[4:5], v[4:5], v[8:9] neg_lo:[0,1] neg_hi:[0,1]
	v_pk_mul_f32 v[8:9], v[18:19], v[4:5] op_sel:[0,1] op_sel_hi:[0,0] neg_lo:[0,1]
	v_pk_fma_f32 v[4:5], v[4:5], v[0:1], v[8:9] op_sel_hi:[1,0,1]
	v_mov_b32_e32 v0, v6
.LBB54_13:
	s_or_b64 exec, exec, s[6:7]
	v_lshlrev_b32_e32 v0, 3, v0
	ds_write_b64 v0, v[4:5] offset:768
.LBB54_14:
	s_or_b64 exec, exec, s[4:5]
	s_waitcnt lgkmcnt(0)
	; wave barrier
	s_waitcnt lgkmcnt(0)
	s_and_saveexec_b64 s[4:5], s[0:1]
	s_cbranch_execz .LBB54_16
; %bb.15:
	ds_read_b64 v[0:1], v1 offset:768
	v_lshlrev_b64 v[2:3], 3, v[2:3]
	v_mov_b32_e32 v4, s3
	v_add_co_u32_e32 v2, vcc, s2, v2
	v_addc_co_u32_e32 v3, vcc, v4, v3, vcc
	s_waitcnt lgkmcnt(0)
	global_store_dwordx2 v[2:3], v[0:1], off
.LBB54_16:
	s_endpgm
	.section	.rodata,"a",@progbits
	.p2align	6, 0x0
	.amdhsa_kernel _ZN9rocsparseL44gtsv_nopivot_strided_batch_pcr_shared_kernelILj32E21rocsparse_complex_numIfEEEviiiPKT0_S5_S5_PS3_
		.amdhsa_group_segment_fixed_size 1280
		.amdhsa_private_segment_fixed_size 0
		.amdhsa_kernarg_size 48
		.amdhsa_user_sgpr_count 6
		.amdhsa_user_sgpr_private_segment_buffer 1
		.amdhsa_user_sgpr_dispatch_ptr 0
		.amdhsa_user_sgpr_queue_ptr 0
		.amdhsa_user_sgpr_kernarg_segment_ptr 1
		.amdhsa_user_sgpr_dispatch_id 0
		.amdhsa_user_sgpr_flat_scratch_init 0
		.amdhsa_user_sgpr_kernarg_preload_length 0
		.amdhsa_user_sgpr_kernarg_preload_offset 0
		.amdhsa_user_sgpr_private_segment_size 0
		.amdhsa_uses_dynamic_stack 0
		.amdhsa_system_sgpr_private_segment_wavefront_offset 0
		.amdhsa_system_sgpr_workgroup_id_x 1
		.amdhsa_system_sgpr_workgroup_id_y 0
		.amdhsa_system_sgpr_workgroup_id_z 0
		.amdhsa_system_sgpr_workgroup_info 0
		.amdhsa_system_vgpr_workitem_id 0
		.amdhsa_next_free_vgpr 32
		.amdhsa_next_free_sgpr 10
		.amdhsa_accum_offset 32
		.amdhsa_reserve_vcc 1
		.amdhsa_reserve_flat_scratch 0
		.amdhsa_float_round_mode_32 0
		.amdhsa_float_round_mode_16_64 0
		.amdhsa_float_denorm_mode_32 3
		.amdhsa_float_denorm_mode_16_64 3
		.amdhsa_dx10_clamp 1
		.amdhsa_ieee_mode 1
		.amdhsa_fp16_overflow 0
		.amdhsa_tg_split 0
		.amdhsa_exception_fp_ieee_invalid_op 0
		.amdhsa_exception_fp_denorm_src 0
		.amdhsa_exception_fp_ieee_div_zero 0
		.amdhsa_exception_fp_ieee_overflow 0
		.amdhsa_exception_fp_ieee_underflow 0
		.amdhsa_exception_fp_ieee_inexact 0
		.amdhsa_exception_int_div_zero 0
	.end_amdhsa_kernel
	.section	.text._ZN9rocsparseL44gtsv_nopivot_strided_batch_pcr_shared_kernelILj32E21rocsparse_complex_numIfEEEviiiPKT0_S5_S5_PS3_,"axG",@progbits,_ZN9rocsparseL44gtsv_nopivot_strided_batch_pcr_shared_kernelILj32E21rocsparse_complex_numIfEEEviiiPKT0_S5_S5_PS3_,comdat
.Lfunc_end54:
	.size	_ZN9rocsparseL44gtsv_nopivot_strided_batch_pcr_shared_kernelILj32E21rocsparse_complex_numIfEEEviiiPKT0_S5_S5_PS3_, .Lfunc_end54-_ZN9rocsparseL44gtsv_nopivot_strided_batch_pcr_shared_kernelILj32E21rocsparse_complex_numIfEEEviiiPKT0_S5_S5_PS3_
                                        ; -- End function
	.section	.AMDGPU.csdata,"",@progbits
; Kernel info:
; codeLenInByte = 2976
; NumSgprs: 14
; NumVgprs: 32
; NumAgprs: 0
; TotalNumVgprs: 32
; ScratchSize: 0
; MemoryBound: 0
; FloatMode: 240
; IeeeMode: 1
; LDSByteSize: 1280 bytes/workgroup (compile time only)
; SGPRBlocks: 1
; VGPRBlocks: 3
; NumSGPRsForWavesPerEU: 14
; NumVGPRsForWavesPerEU: 32
; AccumOffset: 32
; Occupancy: 8
; WaveLimiterHint : 0
; COMPUTE_PGM_RSRC2:SCRATCH_EN: 0
; COMPUTE_PGM_RSRC2:USER_SGPR: 6
; COMPUTE_PGM_RSRC2:TRAP_HANDLER: 0
; COMPUTE_PGM_RSRC2:TGID_X_EN: 1
; COMPUTE_PGM_RSRC2:TGID_Y_EN: 0
; COMPUTE_PGM_RSRC2:TGID_Z_EN: 0
; COMPUTE_PGM_RSRC2:TIDIG_COMP_CNT: 0
; COMPUTE_PGM_RSRC3_GFX90A:ACCUM_OFFSET: 7
; COMPUTE_PGM_RSRC3_GFX90A:TG_SPLIT: 0
	.section	.text._ZN9rocsparseL44gtsv_nopivot_strided_batch_pcr_shared_kernelILj64E21rocsparse_complex_numIfEEEviiiPKT0_S5_S5_PS3_,"axG",@progbits,_ZN9rocsparseL44gtsv_nopivot_strided_batch_pcr_shared_kernelILj64E21rocsparse_complex_numIfEEEviiiPKT0_S5_S5_PS3_,comdat
	.globl	_ZN9rocsparseL44gtsv_nopivot_strided_batch_pcr_shared_kernelILj64E21rocsparse_complex_numIfEEEviiiPKT0_S5_S5_PS3_ ; -- Begin function _ZN9rocsparseL44gtsv_nopivot_strided_batch_pcr_shared_kernelILj64E21rocsparse_complex_numIfEEEviiiPKT0_S5_S5_PS3_
	.p2align	8
	.type	_ZN9rocsparseL44gtsv_nopivot_strided_batch_pcr_shared_kernelILj64E21rocsparse_complex_numIfEEEviiiPKT0_S5_S5_PS3_,@function
_ZN9rocsparseL44gtsv_nopivot_strided_batch_pcr_shared_kernelILj64E21rocsparse_complex_numIfEEEviiiPKT0_S5_S5_PS3_: ; @_ZN9rocsparseL44gtsv_nopivot_strided_batch_pcr_shared_kernelILj64E21rocsparse_complex_numIfEEEviiiPKT0_S5_S5_PS3_
; %bb.0:
	s_load_dword s0, s[4:5], 0x8
	s_load_dword s8, s[4:5], 0x0
	v_mov_b32_e32 v4, 0
	v_mov_b32_e32 v6, 0
	;; [unrolled: 1-line block ×3, first 2 shown]
	s_waitcnt lgkmcnt(0)
	s_mul_i32 s6, s6, s0
	v_add_u32_e32 v2, s6, v0
	v_cmp_gt_i32_e64 s[0:1], s8, v0
	v_ashrrev_i32_e32 v3, 31, v2
	s_and_saveexec_b64 s[2:3], s[0:1]
	s_cbranch_execz .LBB55_2
; %bb.1:
	s_load_dwordx2 s[6:7], s[4:5], 0x10
	v_lshlrev_b64 v[6:7], 3, v[2:3]
	s_waitcnt lgkmcnt(0)
	v_mov_b32_e32 v1, s7
	v_add_co_u32_e32 v6, vcc, s6, v6
	v_addc_co_u32_e32 v7, vcc, v1, v7, vcc
	global_load_dwordx2 v[6:7], v[6:7], off
.LBB55_2:
	s_or_b64 exec, exec, s[2:3]
	v_lshlrev_b32_e32 v1, 3, v0
	v_mov_b32_e32 v5, 0
	s_waitcnt vmcnt(0)
	ds_write_b64 v1, v[6:7]
	s_and_saveexec_b64 s[2:3], s[0:1]
	s_cbranch_execz .LBB55_4
; %bb.3:
	s_load_dwordx2 s[6:7], s[4:5], 0x18
	v_lshlrev_b64 v[4:5], 3, v[2:3]
	s_waitcnt lgkmcnt(0)
	v_mov_b32_e32 v6, s7
	v_add_co_u32_e32 v4, vcc, s6, v4
	v_addc_co_u32_e32 v5, vcc, v6, v5, vcc
	global_load_dwordx2 v[4:5], v[4:5], off
.LBB55_4:
	s_or_b64 exec, exec, s[2:3]
	s_load_dwordx2 s[2:3], s[4:5], 0x28
	s_waitcnt vmcnt(0)
	ds_write_b64 v1, v[4:5] offset:512
	v_mov_b32_e32 v4, 0
	v_mov_b32_e32 v6, 0
	;; [unrolled: 1-line block ×3, first 2 shown]
	s_and_saveexec_b64 s[6:7], s[0:1]
	s_cbranch_execz .LBB55_6
; %bb.5:
	s_load_dwordx2 s[4:5], s[4:5], 0x20
	v_lshlrev_b64 v[6:7], 3, v[2:3]
	s_waitcnt lgkmcnt(0)
	v_mov_b32_e32 v5, s5
	v_add_co_u32_e32 v6, vcc, s4, v6
	v_addc_co_u32_e32 v7, vcc, v5, v7, vcc
	global_load_dwordx2 v[6:7], v[6:7], off
.LBB55_6:
	s_or_b64 exec, exec, s[6:7]
	v_or_b32_e32 v8, 0x200, v1
	v_or_b32_e32 v9, 0x400, v1
	v_mov_b32_e32 v5, 0
	s_waitcnt vmcnt(0)
	ds_write_b64 v1, v[6:7] offset:1024
	s_and_saveexec_b64 s[4:5], s[0:1]
	s_cbranch_execz .LBB55_8
; %bb.7:
	v_lshlrev_b64 v[4:5], 3, v[2:3]
	s_waitcnt lgkmcnt(0)
	v_mov_b32_e32 v6, s3
	v_add_co_u32_e32 v4, vcc, s2, v4
	v_addc_co_u32_e32 v5, vcc, v6, v5, vcc
	global_load_dwordx2 v[4:5], v[4:5], off
.LBB55_8:
	s_or_b64 exec, exec, s[4:5]
	s_waitcnt vmcnt(0)
	ds_write_b64 v1, v[4:5] offset:2048
	v_max_u32_e32 v4, 1, v0
	v_lshlrev_b32_e32 v5, 3, v4
	s_waitcnt lgkmcnt(0)
	; wave barrier
	s_waitcnt lgkmcnt(0)
	ds_read2_b64 v[10:13], v5 offset0:63 offset1:127
	s_add_i32 s4, s8, -1
	v_mov_b32_e32 v4, s4
	v_add_u32_e32 v6, 1, v0
	v_cmp_gt_i32_e32 vcc, s8, v6
	s_waitcnt lgkmcnt(0)
	v_mul_f32_e32 v14, v11, v11
	v_fmac_f32_e32 v14, v10, v10
	v_div_scale_f32 v15, s[4:5], v14, v14, 1.0
	v_rcp_f32_e32 v16, v15
	v_cndmask_b32_e32 v17, v4, v6, vcc
	ds_read_b64 v[6:7], v1
	v_lshlrev_b32_e32 v27, 3, v17
	v_fma_f32 v19, -v15, v16, 1.0
	v_fmac_f32_e32 v16, v19, v16
	v_div_scale_f32 v19, vcc, 1.0, v14, 1.0
	v_mul_f32_e32 v20, v19, v16
	v_fma_f32 v21, -v15, v20, v19
	v_fmac_f32_e32 v20, v21, v16
	v_fma_f32 v15, -v15, v20, v19
	v_div_fmas_f32 v15, v15, v16, v20
	v_add_u32_e32 v18, -8, v5
	v_div_fixup_f32 v19, v15, v14, 1.0
	ds_read2st64_b64 v[14:17], v27 offset1:1
	ds_read_b64 v[20:21], v18
	ds_read_b64 v[22:23], v5 offset:2040
	ds_read_b64 v[24:25], v1 offset:2048
	s_waitcnt lgkmcnt(4)
	v_mul_f32_e32 v5, v11, v7
	v_fmac_f32_e32 v5, v6, v10
	v_mul_f32_e32 v26, v19, v5
	s_waitcnt lgkmcnt(3)
	v_mul_f32_e32 v5, v17, v17
	v_fmac_f32_e32 v5, v16, v16
	v_div_scale_f32 v18, s[4:5], v5, v5, 1.0
	v_rcp_f32_e32 v28, v18
	v_mul_f32_e64 v6, v11, -v6
	v_fmac_f32_e32 v6, v7, v10
	v_mul_f32_e32 v6, v6, v19
	v_fma_f32 v7, -v18, v28, 1.0
	v_fmac_f32_e32 v28, v7, v28
	v_div_scale_f32 v7, vcc, 1.0, v5, 1.0
	v_mul_f32_e32 v19, v7, v28
	v_fma_f32 v10, -v18, v19, v7
	v_fmac_f32_e32 v19, v10, v28
	ds_read_b64 v[10:11], v9
	v_fma_f32 v7, -v18, v19, v7
	v_div_fmas_f32 v7, v7, v28, v19
	ds_read_b64 v[28:29], v8
	v_div_fixup_f32 v5, v7, v5, 1.0
	s_waitcnt lgkmcnt(1)
	v_mul_f32_e32 v7, v17, v11
	v_fmac_f32_e32 v7, v10, v16
	v_mul_f32_e32 v30, v5, v7
	v_mul_f32_e64 v7, v17, -v10
	v_fmac_f32_e32 v7, v11, v16
	ds_read2st64_b64 v[16:19], v27 offset0:2 offset1:4
	v_pk_mul_f32 v[32:33], v[6:7], v[12:13] op_sel:[0,1] op_sel_hi:[0,0] neg_lo:[0,1]
	v_mul_f32_e32 v10, v7, v5
	v_pk_fma_f32 v[12:13], v[12:13], v[26:27], v[32:33] op_sel_hi:[1,0,1]
	s_waitcnt lgkmcnt(1)
	v_pk_add_f32 v[12:13], v[28:29], v[12:13] neg_lo:[0,1] neg_hi:[0,1]
	v_pk_mul_f32 v[28:29], v[10:11], v[14:15] op_sel:[0,1] op_sel_hi:[0,0] neg_lo:[0,1]
	v_pk_fma_f32 v[14:15], v[14:15], v[30:31], v[28:29] op_sel_hi:[1,0,1]
	v_pk_add_f32 v[12:13], v[12:13], v[14:15] neg_lo:[0,1] neg_hi:[0,1]
	v_pk_mul_f32 v[14:15], v[6:7], v[22:23] op_sel:[0,1] op_sel_hi:[0,0] neg_lo:[0,1]
	v_pk_fma_f32 v[14:15], v[22:23], v[26:27], v[14:15] op_sel_hi:[1,0,1]
	s_waitcnt lgkmcnt(0)
	v_pk_mul_f32 v[22:23], v[10:11], v[18:19] op_sel:[0,1] op_sel_hi:[0,0] neg_lo:[0,1]
	v_pk_mul_f32 v[10:11], v[10:11], v[16:17] op_sel:[0,1] op_sel_hi:[0,0] neg_hi:[0,1]
	v_max_u32_e32 v5, 2, v0
	v_pk_add_f32 v[14:15], v[24:25], v[14:15] neg_lo:[0,1] neg_hi:[0,1]
	v_pk_fma_f32 v[18:19], v[18:19], v[30:31], v[22:23] op_sel_hi:[1,0,1]
	v_pk_mul_f32 v[6:7], v[6:7], v[20:21] op_sel:[0,1] op_sel_hi:[0,0] neg_hi:[0,1]
	v_pk_fma_f32 v[10:11], v[16:17], v[30:31], v[10:11] op_sel_hi:[1,0,1] neg_lo:[1,0,0] neg_hi:[1,0,0]
	v_lshlrev_b32_e32 v5, 3, v5
	v_pk_add_f32 v[14:15], v[14:15], v[18:19] neg_lo:[0,1] neg_hi:[0,1]
	v_pk_fma_f32 v[6:7], v[20:21], v[26:27], v[6:7] op_sel_hi:[1,0,1] neg_lo:[1,0,0] neg_hi:[1,0,0]
	s_waitcnt lgkmcnt(0)
	; wave barrier
	ds_write_b64 v8, v[12:13]
	ds_write_b64 v1, v[14:15] offset:2048
	ds_write_b64 v1, v[6:7]
	ds_write_b64 v9, v[10:11]
	s_waitcnt lgkmcnt(0)
	; wave barrier
	s_waitcnt lgkmcnt(0)
	ds_read2_b64 v[10:13], v5 offset0:62 offset1:126
	v_add_u32_e32 v6, 2, v0
	v_cmp_gt_i32_e32 vcc, s8, v6
	v_cndmask_b32_e32 v17, v4, v6, vcc
	ds_read_b64 v[6:7], v1
	s_waitcnt lgkmcnt(1)
	v_mul_f32_e32 v14, v11, v11
	v_fmac_f32_e32 v14, v10, v10
	v_div_scale_f32 v15, s[4:5], v14, v14, 1.0
	v_rcp_f32_e32 v16, v15
	v_lshlrev_b32_e32 v27, 3, v17
	v_add_u32_e32 v18, -16, v5
	v_fma_f32 v19, -v15, v16, 1.0
	v_fmac_f32_e32 v16, v19, v16
	v_div_scale_f32 v19, vcc, 1.0, v14, 1.0
	v_mul_f32_e32 v20, v19, v16
	v_fma_f32 v21, -v15, v20, v19
	v_fmac_f32_e32 v20, v21, v16
	v_fma_f32 v15, -v15, v20, v19
	v_div_fmas_f32 v15, v15, v16, v20
	v_div_fixup_f32 v19, v15, v14, 1.0
	ds_read2st64_b64 v[14:17], v27 offset1:1
	ds_read_b64 v[20:21], v18
	ds_read_b64 v[22:23], v5 offset:2032
	ds_read_b64 v[24:25], v1 offset:2048
	s_waitcnt lgkmcnt(4)
	v_mul_f32_e32 v5, v11, v7
	v_fmac_f32_e32 v5, v6, v10
	v_mul_f32_e32 v26, v19, v5
	s_waitcnt lgkmcnt(3)
	v_mul_f32_e32 v5, v17, v17
	v_fmac_f32_e32 v5, v16, v16
	v_div_scale_f32 v18, s[4:5], v5, v5, 1.0
	v_rcp_f32_e32 v28, v18
	v_mul_f32_e64 v6, v11, -v6
	v_fmac_f32_e32 v6, v7, v10
	v_mul_f32_e32 v6, v6, v19
	v_fma_f32 v7, -v18, v28, 1.0
	v_fmac_f32_e32 v28, v7, v28
	v_div_scale_f32 v7, vcc, 1.0, v5, 1.0
	v_mul_f32_e32 v19, v7, v28
	v_fma_f32 v10, -v18, v19, v7
	v_fmac_f32_e32 v19, v10, v28
	ds_read_b64 v[10:11], v9
	v_fma_f32 v7, -v18, v19, v7
	v_div_fmas_f32 v7, v7, v28, v19
	ds_read_b64 v[28:29], v8
	v_div_fixup_f32 v5, v7, v5, 1.0
	s_waitcnt lgkmcnt(1)
	v_mul_f32_e32 v7, v17, v11
	v_fmac_f32_e32 v7, v10, v16
	v_mul_f32_e32 v30, v5, v7
	v_mul_f32_e64 v7, v17, -v10
	v_fmac_f32_e32 v7, v11, v16
	ds_read2st64_b64 v[16:19], v27 offset0:2 offset1:4
	v_pk_mul_f32 v[32:33], v[6:7], v[12:13] op_sel:[0,1] op_sel_hi:[0,0] neg_lo:[0,1]
	v_mul_f32_e32 v10, v7, v5
	v_pk_fma_f32 v[12:13], v[12:13], v[26:27], v[32:33] op_sel_hi:[1,0,1]
	s_waitcnt lgkmcnt(1)
	v_pk_add_f32 v[12:13], v[28:29], v[12:13] neg_lo:[0,1] neg_hi:[0,1]
	v_pk_mul_f32 v[28:29], v[10:11], v[14:15] op_sel:[0,1] op_sel_hi:[0,0] neg_lo:[0,1]
	v_pk_fma_f32 v[14:15], v[14:15], v[30:31], v[28:29] op_sel_hi:[1,0,1]
	v_pk_add_f32 v[12:13], v[12:13], v[14:15] neg_lo:[0,1] neg_hi:[0,1]
	v_pk_mul_f32 v[14:15], v[6:7], v[22:23] op_sel:[0,1] op_sel_hi:[0,0] neg_lo:[0,1]
	v_pk_fma_f32 v[14:15], v[22:23], v[26:27], v[14:15] op_sel_hi:[1,0,1]
	s_waitcnt lgkmcnt(0)
	v_pk_mul_f32 v[22:23], v[10:11], v[18:19] op_sel:[0,1] op_sel_hi:[0,0] neg_lo:[0,1]
	v_pk_mul_f32 v[10:11], v[10:11], v[16:17] op_sel:[0,1] op_sel_hi:[0,0] neg_hi:[0,1]
	v_max_u32_e32 v5, 4, v0
	v_pk_add_f32 v[14:15], v[24:25], v[14:15] neg_lo:[0,1] neg_hi:[0,1]
	v_pk_fma_f32 v[18:19], v[18:19], v[30:31], v[22:23] op_sel_hi:[1,0,1]
	v_pk_mul_f32 v[6:7], v[6:7], v[20:21] op_sel:[0,1] op_sel_hi:[0,0] neg_hi:[0,1]
	v_pk_fma_f32 v[10:11], v[16:17], v[30:31], v[10:11] op_sel_hi:[1,0,1] neg_lo:[1,0,0] neg_hi:[1,0,0]
	v_lshlrev_b32_e32 v5, 3, v5
	v_pk_add_f32 v[14:15], v[14:15], v[18:19] neg_lo:[0,1] neg_hi:[0,1]
	v_pk_fma_f32 v[6:7], v[20:21], v[26:27], v[6:7] op_sel_hi:[1,0,1] neg_lo:[1,0,0] neg_hi:[1,0,0]
	s_waitcnt lgkmcnt(0)
	; wave barrier
	ds_write_b64 v8, v[12:13]
	ds_write_b64 v1, v[14:15] offset:2048
	ds_write_b64 v1, v[6:7]
	ds_write_b64 v9, v[10:11]
	s_waitcnt lgkmcnt(0)
	; wave barrier
	s_waitcnt lgkmcnt(0)
	ds_read2_b64 v[10:13], v5 offset0:60 offset1:124
	v_add_u32_e32 v6, 4, v0
	v_cmp_gt_i32_e32 vcc, s8, v6
	v_cndmask_b32_e32 v17, v4, v6, vcc
	ds_read_b64 v[6:7], v1
	s_waitcnt lgkmcnt(1)
	v_mul_f32_e32 v14, v11, v11
	v_fmac_f32_e32 v14, v10, v10
	v_div_scale_f32 v15, s[4:5], v14, v14, 1.0
	v_rcp_f32_e32 v16, v15
	v_lshlrev_b32_e32 v27, 3, v17
	v_subrev_u32_e32 v18, 32, v5
	v_fma_f32 v19, -v15, v16, 1.0
	v_fmac_f32_e32 v16, v19, v16
	v_div_scale_f32 v19, vcc, 1.0, v14, 1.0
	v_mul_f32_e32 v20, v19, v16
	v_fma_f32 v21, -v15, v20, v19
	v_fmac_f32_e32 v20, v21, v16
	v_fma_f32 v15, -v15, v20, v19
	v_div_fmas_f32 v15, v15, v16, v20
	v_div_fixup_f32 v19, v15, v14, 1.0
	ds_read2st64_b64 v[14:17], v27 offset1:1
	ds_read_b64 v[20:21], v18
	ds_read_b64 v[22:23], v5 offset:2016
	ds_read_b64 v[24:25], v1 offset:2048
	s_waitcnt lgkmcnt(4)
	v_mul_f32_e32 v5, v11, v7
	v_fmac_f32_e32 v5, v6, v10
	v_mul_f32_e32 v26, v19, v5
	s_waitcnt lgkmcnt(3)
	v_mul_f32_e32 v5, v17, v17
	v_fmac_f32_e32 v5, v16, v16
	v_div_scale_f32 v18, s[4:5], v5, v5, 1.0
	v_rcp_f32_e32 v28, v18
	v_mul_f32_e64 v6, v11, -v6
	v_fmac_f32_e32 v6, v7, v10
	v_mul_f32_e32 v6, v6, v19
	v_fma_f32 v7, -v18, v28, 1.0
	v_fmac_f32_e32 v28, v7, v28
	v_div_scale_f32 v7, vcc, 1.0, v5, 1.0
	v_mul_f32_e32 v19, v7, v28
	v_fma_f32 v10, -v18, v19, v7
	v_fmac_f32_e32 v19, v10, v28
	ds_read_b64 v[10:11], v9
	v_fma_f32 v7, -v18, v19, v7
	v_div_fmas_f32 v7, v7, v28, v19
	ds_read_b64 v[28:29], v8
	v_div_fixup_f32 v5, v7, v5, 1.0
	s_waitcnt lgkmcnt(1)
	v_mul_f32_e32 v7, v17, v11
	v_fmac_f32_e32 v7, v10, v16
	v_mul_f32_e32 v30, v5, v7
	v_mul_f32_e64 v7, v17, -v10
	v_fmac_f32_e32 v7, v11, v16
	ds_read2st64_b64 v[16:19], v27 offset0:2 offset1:4
	v_pk_mul_f32 v[32:33], v[6:7], v[12:13] op_sel:[0,1] op_sel_hi:[0,0] neg_lo:[0,1]
	v_mul_f32_e32 v10, v7, v5
	v_pk_fma_f32 v[12:13], v[12:13], v[26:27], v[32:33] op_sel_hi:[1,0,1]
	s_waitcnt lgkmcnt(1)
	v_pk_add_f32 v[12:13], v[28:29], v[12:13] neg_lo:[0,1] neg_hi:[0,1]
	v_pk_mul_f32 v[28:29], v[10:11], v[14:15] op_sel:[0,1] op_sel_hi:[0,0] neg_lo:[0,1]
	v_pk_fma_f32 v[14:15], v[14:15], v[30:31], v[28:29] op_sel_hi:[1,0,1]
	v_pk_add_f32 v[12:13], v[12:13], v[14:15] neg_lo:[0,1] neg_hi:[0,1]
	v_pk_mul_f32 v[14:15], v[6:7], v[22:23] op_sel:[0,1] op_sel_hi:[0,0] neg_lo:[0,1]
	v_pk_fma_f32 v[14:15], v[22:23], v[26:27], v[14:15] op_sel_hi:[1,0,1]
	s_waitcnt lgkmcnt(0)
	v_pk_mul_f32 v[22:23], v[10:11], v[18:19] op_sel:[0,1] op_sel_hi:[0,0] neg_lo:[0,1]
	v_pk_mul_f32 v[10:11], v[10:11], v[16:17] op_sel:[0,1] op_sel_hi:[0,0] neg_hi:[0,1]
	v_max_u32_e32 v5, 8, v0
	v_pk_add_f32 v[14:15], v[24:25], v[14:15] neg_lo:[0,1] neg_hi:[0,1]
	v_pk_fma_f32 v[18:19], v[18:19], v[30:31], v[22:23] op_sel_hi:[1,0,1]
	v_pk_mul_f32 v[6:7], v[6:7], v[20:21] op_sel:[0,1] op_sel_hi:[0,0] neg_hi:[0,1]
	v_pk_fma_f32 v[10:11], v[16:17], v[30:31], v[10:11] op_sel_hi:[1,0,1] neg_lo:[1,0,0] neg_hi:[1,0,0]
	v_lshlrev_b32_e32 v5, 3, v5
	v_pk_add_f32 v[14:15], v[14:15], v[18:19] neg_lo:[0,1] neg_hi:[0,1]
	v_pk_fma_f32 v[6:7], v[20:21], v[26:27], v[6:7] op_sel_hi:[1,0,1] neg_lo:[1,0,0] neg_hi:[1,0,0]
	s_waitcnt lgkmcnt(0)
	; wave barrier
	ds_write_b64 v8, v[12:13]
	ds_write_b64 v1, v[14:15] offset:2048
	ds_write_b64 v1, v[6:7]
	ds_write_b64 v9, v[10:11]
	s_waitcnt lgkmcnt(0)
	; wave barrier
	s_waitcnt lgkmcnt(0)
	ds_read2_b64 v[10:13], v5 offset0:56 offset1:120
	v_add_u32_e32 v6, 8, v0
	v_cmp_gt_i32_e32 vcc, s8, v6
	v_cndmask_b32_e32 v17, v4, v6, vcc
	ds_read_b64 v[6:7], v1
	s_waitcnt lgkmcnt(1)
	v_mul_f32_e32 v14, v11, v11
	v_fmac_f32_e32 v14, v10, v10
	v_div_scale_f32 v15, s[4:5], v14, v14, 1.0
	v_rcp_f32_e32 v16, v15
	v_lshlrev_b32_e32 v27, 3, v17
	v_subrev_u32_e32 v18, 64, v5
	v_fma_f32 v19, -v15, v16, 1.0
	v_fmac_f32_e32 v16, v19, v16
	v_div_scale_f32 v19, vcc, 1.0, v14, 1.0
	v_mul_f32_e32 v20, v19, v16
	v_fma_f32 v21, -v15, v20, v19
	v_fmac_f32_e32 v20, v21, v16
	v_fma_f32 v15, -v15, v20, v19
	v_div_fmas_f32 v15, v15, v16, v20
	v_div_fixup_f32 v19, v15, v14, 1.0
	ds_read2st64_b64 v[14:17], v27 offset1:1
	ds_read_b64 v[20:21], v18
	ds_read_b64 v[22:23], v5 offset:1984
	ds_read_b64 v[24:25], v1 offset:2048
	s_waitcnt lgkmcnt(4)
	v_mul_f32_e32 v5, v11, v7
	v_fmac_f32_e32 v5, v6, v10
	v_mul_f32_e32 v26, v19, v5
	s_waitcnt lgkmcnt(3)
	v_mul_f32_e32 v5, v17, v17
	v_fmac_f32_e32 v5, v16, v16
	v_div_scale_f32 v18, s[4:5], v5, v5, 1.0
	v_rcp_f32_e32 v28, v18
	v_mul_f32_e64 v6, v11, -v6
	v_fmac_f32_e32 v6, v7, v10
	v_mul_f32_e32 v6, v6, v19
	v_fma_f32 v7, -v18, v28, 1.0
	v_fmac_f32_e32 v28, v7, v28
	v_div_scale_f32 v7, vcc, 1.0, v5, 1.0
	v_mul_f32_e32 v19, v7, v28
	v_fma_f32 v10, -v18, v19, v7
	v_fmac_f32_e32 v19, v10, v28
	ds_read_b64 v[10:11], v9
	v_fma_f32 v7, -v18, v19, v7
	v_div_fmas_f32 v7, v7, v28, v19
	ds_read_b64 v[28:29], v8
	v_div_fixup_f32 v5, v7, v5, 1.0
	s_waitcnt lgkmcnt(1)
	v_mul_f32_e32 v7, v17, v11
	v_fmac_f32_e32 v7, v10, v16
	v_mul_f32_e32 v30, v5, v7
	v_mul_f32_e64 v7, v17, -v10
	v_fmac_f32_e32 v7, v11, v16
	ds_read2st64_b64 v[16:19], v27 offset0:2 offset1:4
	v_pk_mul_f32 v[32:33], v[6:7], v[12:13] op_sel:[0,1] op_sel_hi:[0,0] neg_lo:[0,1]
	v_mul_f32_e32 v10, v7, v5
	v_pk_fma_f32 v[12:13], v[12:13], v[26:27], v[32:33] op_sel_hi:[1,0,1]
	s_waitcnt lgkmcnt(1)
	v_pk_add_f32 v[12:13], v[28:29], v[12:13] neg_lo:[0,1] neg_hi:[0,1]
	v_pk_mul_f32 v[28:29], v[10:11], v[14:15] op_sel:[0,1] op_sel_hi:[0,0] neg_lo:[0,1]
	v_pk_fma_f32 v[14:15], v[14:15], v[30:31], v[28:29] op_sel_hi:[1,0,1]
	v_pk_add_f32 v[12:13], v[12:13], v[14:15] neg_lo:[0,1] neg_hi:[0,1]
	v_pk_mul_f32 v[14:15], v[6:7], v[22:23] op_sel:[0,1] op_sel_hi:[0,0] neg_lo:[0,1]
	v_pk_fma_f32 v[14:15], v[22:23], v[26:27], v[14:15] op_sel_hi:[1,0,1]
	s_waitcnt lgkmcnt(0)
	v_pk_mul_f32 v[22:23], v[10:11], v[18:19] op_sel:[0,1] op_sel_hi:[0,0] neg_lo:[0,1]
	v_pk_mul_f32 v[10:11], v[10:11], v[16:17] op_sel:[0,1] op_sel_hi:[0,0] neg_hi:[0,1]
	v_max_u32_e32 v5, 16, v0
	v_pk_add_f32 v[14:15], v[24:25], v[14:15] neg_lo:[0,1] neg_hi:[0,1]
	v_pk_fma_f32 v[18:19], v[18:19], v[30:31], v[22:23] op_sel_hi:[1,0,1]
	v_pk_mul_f32 v[6:7], v[6:7], v[20:21] op_sel:[0,1] op_sel_hi:[0,0] neg_hi:[0,1]
	v_pk_fma_f32 v[10:11], v[16:17], v[30:31], v[10:11] op_sel_hi:[1,0,1] neg_lo:[1,0,0] neg_hi:[1,0,0]
	v_lshlrev_b32_e32 v16, 3, v5
	v_pk_add_f32 v[14:15], v[14:15], v[18:19] neg_lo:[0,1] neg_hi:[0,1]
	v_pk_fma_f32 v[6:7], v[20:21], v[26:27], v[6:7] op_sel_hi:[1,0,1] neg_lo:[1,0,0] neg_hi:[1,0,0]
	s_waitcnt lgkmcnt(0)
	; wave barrier
	ds_write_b64 v8, v[12:13]
	ds_write_b64 v1, v[14:15] offset:2048
	ds_write_b64 v1, v[6:7]
	ds_write_b64 v9, v[10:11]
	s_waitcnt lgkmcnt(0)
	; wave barrier
	s_waitcnt lgkmcnt(0)
	ds_read2_b64 v[10:13], v16 offset0:48 offset1:112
	v_add_u32_e32 v5, 16, v0
	v_cmp_gt_i32_e32 vcc, s8, v5
	v_cndmask_b32_e32 v4, v4, v5, vcc
	ds_read_b64 v[14:15], v1
	s_waitcnt lgkmcnt(1)
	v_mul_f32_e32 v6, v11, v11
	v_fmac_f32_e32 v6, v10, v10
	v_div_scale_f32 v7, s[4:5], v6, v6, 1.0
	v_rcp_f32_e32 v17, v7
	v_add_u32_e32 v18, 0xffffff80, v16
	v_lshlrev_b32_e32 v25, 3, v4
	v_fma_f32 v5, -v7, v17, 1.0
	v_fmac_f32_e32 v17, v5, v17
	v_div_scale_f32 v5, vcc, 1.0, v6, 1.0
	v_mul_f32_e32 v19, v5, v17
	v_fma_f32 v20, -v7, v19, v5
	v_fmac_f32_e32 v19, v20, v17
	v_fma_f32 v5, -v7, v19, v5
	v_div_fmas_f32 v5, v5, v17, v19
	v_div_fixup_f32 v17, v5, v6, 1.0
	ds_read2st64_b64 v[4:7], v25 offset1:1
	ds_read_b64 v[18:19], v18
	ds_read_b64 v[20:21], v16 offset:1920
	ds_read_b64 v[22:23], v1 offset:2048
	s_waitcnt lgkmcnt(4)
	v_mul_f32_e32 v16, v11, v15
	v_fmac_f32_e32 v16, v14, v10
	v_mul_f32_e32 v24, v17, v16
	s_waitcnt lgkmcnt(3)
	v_mul_f32_e32 v16, v7, v7
	v_fmac_f32_e32 v16, v6, v6
	v_div_scale_f32 v26, s[4:5], v16, v16, 1.0
	v_rcp_f32_e32 v27, v26
	v_mul_f32_e64 v11, v11, -v14
	v_fmac_f32_e32 v11, v15, v10
	v_mul_f32_e32 v10, v11, v17
	v_fma_f32 v11, -v26, v27, 1.0
	v_fmac_f32_e32 v27, v11, v27
	v_div_scale_f32 v11, vcc, 1.0, v16, 1.0
	v_mul_f32_e32 v17, v11, v27
	v_fma_f32 v14, -v26, v17, v11
	v_fmac_f32_e32 v17, v14, v27
	ds_read_b64 v[14:15], v9
	v_fma_f32 v11, -v26, v17, v11
	v_div_fmas_f32 v11, v11, v27, v17
	ds_read_b64 v[26:27], v8
	v_div_fixup_f32 v11, v11, v16, 1.0
	s_waitcnt lgkmcnt(1)
	v_mul_f32_e32 v16, v7, v15
	v_fmac_f32_e32 v16, v14, v6
	v_mul_f32_e64 v7, v7, -v14
	v_mul_f32_e32 v28, v11, v16
	v_fmac_f32_e32 v7, v15, v6
	ds_read2st64_b64 v[14:17], v25 offset0:2 offset1:4
	v_pk_mul_f32 v[30:31], v[10:11], v[12:13] op_sel:[0,1] op_sel_hi:[0,0] neg_lo:[0,1]
	v_mul_f32_e32 v6, v7, v11
	v_pk_fma_f32 v[12:13], v[12:13], v[24:25], v[30:31] op_sel_hi:[1,0,1]
	s_waitcnt lgkmcnt(1)
	v_pk_add_f32 v[12:13], v[26:27], v[12:13] neg_lo:[0,1] neg_hi:[0,1]
	v_pk_mul_f32 v[26:27], v[6:7], v[4:5] op_sel:[0,1] op_sel_hi:[0,0] neg_lo:[0,1]
	v_pk_fma_f32 v[4:5], v[4:5], v[28:29], v[26:27] op_sel_hi:[1,0,1]
	v_pk_add_f32 v[4:5], v[12:13], v[4:5] neg_lo:[0,1] neg_hi:[0,1]
	v_pk_mul_f32 v[12:13], v[10:11], v[20:21] op_sel:[0,1] op_sel_hi:[0,0] neg_lo:[0,1]
	v_pk_fma_f32 v[12:13], v[20:21], v[24:25], v[12:13] op_sel_hi:[1,0,1]
	s_waitcnt lgkmcnt(0)
	v_pk_mul_f32 v[20:21], v[6:7], v[16:17] op_sel:[0,1] op_sel_hi:[0,0] neg_lo:[0,1]
	v_pk_add_f32 v[12:13], v[22:23], v[12:13] neg_lo:[0,1] neg_hi:[0,1]
	v_pk_fma_f32 v[16:17], v[16:17], v[28:29], v[20:21] op_sel_hi:[1,0,1]
	v_pk_mul_f32 v[10:11], v[10:11], v[18:19] op_sel:[0,1] op_sel_hi:[0,0] neg_hi:[0,1]
	v_pk_mul_f32 v[6:7], v[6:7], v[14:15] op_sel:[0,1] op_sel_hi:[0,0] neg_hi:[0,1]
	v_cmp_gt_u32_e32 vcc, 32, v0
	v_pk_add_f32 v[12:13], v[12:13], v[16:17] neg_lo:[0,1] neg_hi:[0,1]
	v_pk_fma_f32 v[10:11], v[18:19], v[24:25], v[10:11] op_sel_hi:[1,0,1] neg_lo:[1,0,0] neg_hi:[1,0,0]
	v_pk_fma_f32 v[6:7], v[14:15], v[28:29], v[6:7] op_sel_hi:[1,0,1] neg_lo:[1,0,0] neg_hi:[1,0,0]
	s_waitcnt lgkmcnt(0)
	; wave barrier
	ds_write_b64 v8, v[4:5]
	ds_write_b64 v1, v[12:13] offset:2048
	ds_write_b64 v1, v[10:11]
	ds_write_b64 v9, v[6:7]
	s_waitcnt lgkmcnt(0)
	; wave barrier
	s_waitcnt lgkmcnt(0)
	s_and_saveexec_b64 s[4:5], vcc
	s_cbranch_execz .LBB55_14
; %bb.9:
	v_or_b32_e32 v6, 32, v0
	v_or_b32_e32 v7, 0x800, v1
	v_cmp_le_i32_e32 vcc, s8, v6
                                        ; implicit-def: $vgpr4_vgpr5
	s_and_saveexec_b64 s[6:7], vcc
	s_xor_b64 s[6:7], exec, s[6:7]
	s_cbranch_execz .LBB55_11
; %bb.10:
	ds_read_b64 v[4:5], v8
	ds_read_b64 v[6:7], v7
	s_waitcnt lgkmcnt(1)
	v_mul_f32_e32 v10, v5, v5
	v_fmac_f32_e32 v10, v4, v4
	v_div_scale_f32 v11, s[8:9], v10, v10, 1.0
	v_rcp_f32_e32 v12, v11
	v_div_scale_f32 v13, vcc, 1.0, v10, 1.0
	s_waitcnt lgkmcnt(0)
	v_pk_mul_f32 v[8:9], v[4:5], v[6:7] op_sel:[1,1] op_sel_hi:[1,0] neg_hi:[0,1]
	v_fma_f32 v14, -v11, v12, 1.0
	v_fmac_f32_e32 v12, v14, v12
	v_mul_f32_e32 v14, v13, v12
	v_fma_f32 v15, -v11, v14, v13
	v_fmac_f32_e32 v14, v15, v12
	v_fma_f32 v11, -v11, v14, v13
	v_div_fmas_f32 v11, v11, v12, v14
	v_div_fixup_f32 v10, v11, v10, 1.0
	v_pk_fma_f32 v[4:5], v[6:7], v[4:5], v[8:9] op_sel_hi:[1,0,1]
	v_pk_mul_f32 v[4:5], v[10:11], v[4:5] op_sel_hi:[0,1]
                                        ; implicit-def: $vgpr8
                                        ; implicit-def: $vgpr9
                                        ; implicit-def: $vgpr7
                                        ; implicit-def: $vgpr6
.LBB55_11:
	s_andn2_saveexec_b64 s[6:7], s[6:7]
	s_cbranch_execz .LBB55_13
; %bb.12:
	ds_read2_b64 v[10:13], v8 offset1:32
	ds_read_b64 v[4:5], v9
	ds_read_b64 v[8:9], v1 offset:256
	s_waitcnt lgkmcnt(2)
	v_pk_mul_f32 v[14:15], v[10:11], v[12:13] op_sel:[1,1] op_sel_hi:[1,0] neg_lo:[0,1]
	v_pk_fma_f32 v[14:15], v[12:13], v[10:11], v[14:15] op_sel_hi:[1,0,1]
	s_waitcnt lgkmcnt(0)
	v_pk_mul_f32 v[16:17], v[8:9], v[4:5] op_sel:[1,1] op_sel_hi:[1,0] neg_lo:[0,1]
	v_pk_fma_f32 v[16:17], v[4:5], v[8:9], v[16:17] op_sel_hi:[1,0,1]
	v_pk_add_f32 v[18:19], v[14:15], v[16:17] neg_lo:[0,1] neg_hi:[0,1]
	v_mul_f32_e32 v0, v19, v19
	v_fmac_f32_e32 v0, v18, v18
	v_div_scale_f32 v20, s[8:9], v0, v0, 1.0
	v_rcp_f32_e32 v21, v20
	ds_read2_b64 v[14:17], v7 offset1:32
	v_fma_f32 v7, -v20, v21, 1.0
	v_fmac_f32_e32 v21, v7, v21
	v_div_scale_f32 v7, vcc, 1.0, v0, 1.0
	v_mul_f32_e32 v22, v7, v21
	v_fma_f32 v23, -v20, v22, v7
	v_fmac_f32_e32 v22, v23, v21
	v_fma_f32 v7, -v20, v22, v7
	v_div_fmas_f32 v7, v7, v21, v22
	s_waitcnt lgkmcnt(0)
	v_pk_mul_f32 v[20:21], v[14:15], v[12:13] op_sel:[1,1] op_sel_hi:[1,0] neg_lo:[0,1]
	v_pk_fma_f32 v[12:13], v[12:13], v[14:15], v[20:21] op_sel_hi:[1,0,1]
	v_pk_mul_f32 v[20:21], v[16:17], v[4:5] op_sel:[1,1] op_sel_hi:[1,0] neg_lo:[0,1]
	v_div_fixup_f32 v7, v7, v0, 1.0
	v_fma_f32 v0, 0, v19, v18
	v_fma_f32 v18, v18, 0, -v19
	v_pk_fma_f32 v[4:5], v[4:5], v[16:17], v[20:21] op_sel_hi:[1,0,1]
	v_mul_f32_e32 v18, v18, v7
	v_pk_add_f32 v[4:5], v[12:13], v[4:5] neg_lo:[0,1] neg_hi:[0,1]
	v_mul_f32_e32 v0, v0, v7
	v_pk_mul_f32 v[12:13], v[18:19], v[4:5] op_sel:[0,1] op_sel_hi:[0,0] neg_lo:[0,1]
	v_pk_fma_f32 v[4:5], v[4:5], v[0:1], v[12:13] op_sel_hi:[1,0,1]
	ds_write_b64 v1, v[4:5] offset:1536
	v_pk_mul_f32 v[4:5], v[10:11], v[16:17] op_sel:[1,1] op_sel_hi:[1,0] neg_lo:[0,1]
	v_pk_fma_f32 v[4:5], v[16:17], v[10:11], v[4:5] op_sel_hi:[1,0,1]
	v_pk_mul_f32 v[10:11], v[8:9], v[14:15] op_sel:[1,1] op_sel_hi:[1,0] neg_lo:[0,1]
	v_pk_fma_f32 v[8:9], v[14:15], v[8:9], v[10:11] op_sel_hi:[1,0,1]
	v_pk_add_f32 v[4:5], v[4:5], v[8:9] neg_lo:[0,1] neg_hi:[0,1]
	v_pk_mul_f32 v[8:9], v[18:19], v[4:5] op_sel:[0,1] op_sel_hi:[0,0] neg_lo:[0,1]
	v_pk_fma_f32 v[4:5], v[4:5], v[0:1], v[8:9] op_sel_hi:[1,0,1]
	v_mov_b32_e32 v0, v6
.LBB55_13:
	s_or_b64 exec, exec, s[6:7]
	v_lshlrev_b32_e32 v0, 3, v0
	ds_write_b64 v0, v[4:5] offset:1536
.LBB55_14:
	s_or_b64 exec, exec, s[4:5]
	s_waitcnt lgkmcnt(0)
	; wave barrier
	s_waitcnt lgkmcnt(0)
	s_and_saveexec_b64 s[4:5], s[0:1]
	s_cbranch_execz .LBB55_16
; %bb.15:
	ds_read_b64 v[0:1], v1 offset:1536
	v_lshlrev_b64 v[2:3], 3, v[2:3]
	v_mov_b32_e32 v4, s3
	v_add_co_u32_e32 v2, vcc, s2, v2
	v_addc_co_u32_e32 v3, vcc, v4, v3, vcc
	s_waitcnt lgkmcnt(0)
	global_store_dwordx2 v[2:3], v[0:1], off
.LBB55_16:
	s_endpgm
	.section	.rodata,"a",@progbits
	.p2align	6, 0x0
	.amdhsa_kernel _ZN9rocsparseL44gtsv_nopivot_strided_batch_pcr_shared_kernelILj64E21rocsparse_complex_numIfEEEviiiPKT0_S5_S5_PS3_
		.amdhsa_group_segment_fixed_size 2560
		.amdhsa_private_segment_fixed_size 0
		.amdhsa_kernarg_size 48
		.amdhsa_user_sgpr_count 6
		.amdhsa_user_sgpr_private_segment_buffer 1
		.amdhsa_user_sgpr_dispatch_ptr 0
		.amdhsa_user_sgpr_queue_ptr 0
		.amdhsa_user_sgpr_kernarg_segment_ptr 1
		.amdhsa_user_sgpr_dispatch_id 0
		.amdhsa_user_sgpr_flat_scratch_init 0
		.amdhsa_user_sgpr_kernarg_preload_length 0
		.amdhsa_user_sgpr_kernarg_preload_offset 0
		.amdhsa_user_sgpr_private_segment_size 0
		.amdhsa_uses_dynamic_stack 0
		.amdhsa_system_sgpr_private_segment_wavefront_offset 0
		.amdhsa_system_sgpr_workgroup_id_x 1
		.amdhsa_system_sgpr_workgroup_id_y 0
		.amdhsa_system_sgpr_workgroup_id_z 0
		.amdhsa_system_sgpr_workgroup_info 0
		.amdhsa_system_vgpr_workitem_id 0
		.amdhsa_next_free_vgpr 34
		.amdhsa_next_free_sgpr 10
		.amdhsa_accum_offset 36
		.amdhsa_reserve_vcc 1
		.amdhsa_reserve_flat_scratch 0
		.amdhsa_float_round_mode_32 0
		.amdhsa_float_round_mode_16_64 0
		.amdhsa_float_denorm_mode_32 3
		.amdhsa_float_denorm_mode_16_64 3
		.amdhsa_dx10_clamp 1
		.amdhsa_ieee_mode 1
		.amdhsa_fp16_overflow 0
		.amdhsa_tg_split 0
		.amdhsa_exception_fp_ieee_invalid_op 0
		.amdhsa_exception_fp_denorm_src 0
		.amdhsa_exception_fp_ieee_div_zero 0
		.amdhsa_exception_fp_ieee_overflow 0
		.amdhsa_exception_fp_ieee_underflow 0
		.amdhsa_exception_fp_ieee_inexact 0
		.amdhsa_exception_int_div_zero 0
	.end_amdhsa_kernel
	.section	.text._ZN9rocsparseL44gtsv_nopivot_strided_batch_pcr_shared_kernelILj64E21rocsparse_complex_numIfEEEviiiPKT0_S5_S5_PS3_,"axG",@progbits,_ZN9rocsparseL44gtsv_nopivot_strided_batch_pcr_shared_kernelILj64E21rocsparse_complex_numIfEEEviiiPKT0_S5_S5_PS3_,comdat
.Lfunc_end55:
	.size	_ZN9rocsparseL44gtsv_nopivot_strided_batch_pcr_shared_kernelILj64E21rocsparse_complex_numIfEEEviiiPKT0_S5_S5_PS3_, .Lfunc_end55-_ZN9rocsparseL44gtsv_nopivot_strided_batch_pcr_shared_kernelILj64E21rocsparse_complex_numIfEEEviiiPKT0_S5_S5_PS3_
                                        ; -- End function
	.section	.AMDGPU.csdata,"",@progbits
; Kernel info:
; codeLenInByte = 3496
; NumSgprs: 14
; NumVgprs: 34
; NumAgprs: 0
; TotalNumVgprs: 34
; ScratchSize: 0
; MemoryBound: 0
; FloatMode: 240
; IeeeMode: 1
; LDSByteSize: 2560 bytes/workgroup (compile time only)
; SGPRBlocks: 1
; VGPRBlocks: 4
; NumSGPRsForWavesPerEU: 14
; NumVGPRsForWavesPerEU: 34
; AccumOffset: 36
; Occupancy: 7
; WaveLimiterHint : 0
; COMPUTE_PGM_RSRC2:SCRATCH_EN: 0
; COMPUTE_PGM_RSRC2:USER_SGPR: 6
; COMPUTE_PGM_RSRC2:TRAP_HANDLER: 0
; COMPUTE_PGM_RSRC2:TGID_X_EN: 1
; COMPUTE_PGM_RSRC2:TGID_Y_EN: 0
; COMPUTE_PGM_RSRC2:TGID_Z_EN: 0
; COMPUTE_PGM_RSRC2:TIDIG_COMP_CNT: 0
; COMPUTE_PGM_RSRC3_GFX90A:ACCUM_OFFSET: 8
; COMPUTE_PGM_RSRC3_GFX90A:TG_SPLIT: 0
	.section	.text._ZN9rocsparseL44gtsv_nopivot_strided_batch_pcr_shared_kernelILj128E21rocsparse_complex_numIfEEEviiiPKT0_S5_S5_PS3_,"axG",@progbits,_ZN9rocsparseL44gtsv_nopivot_strided_batch_pcr_shared_kernelILj128E21rocsparse_complex_numIfEEEviiiPKT0_S5_S5_PS3_,comdat
	.globl	_ZN9rocsparseL44gtsv_nopivot_strided_batch_pcr_shared_kernelILj128E21rocsparse_complex_numIfEEEviiiPKT0_S5_S5_PS3_ ; -- Begin function _ZN9rocsparseL44gtsv_nopivot_strided_batch_pcr_shared_kernelILj128E21rocsparse_complex_numIfEEEviiiPKT0_S5_S5_PS3_
	.p2align	8
	.type	_ZN9rocsparseL44gtsv_nopivot_strided_batch_pcr_shared_kernelILj128E21rocsparse_complex_numIfEEEviiiPKT0_S5_S5_PS3_,@function
_ZN9rocsparseL44gtsv_nopivot_strided_batch_pcr_shared_kernelILj128E21rocsparse_complex_numIfEEEviiiPKT0_S5_S5_PS3_: ; @_ZN9rocsparseL44gtsv_nopivot_strided_batch_pcr_shared_kernelILj128E21rocsparse_complex_numIfEEEviiiPKT0_S5_S5_PS3_
; %bb.0:
	s_load_dword s0, s[4:5], 0x8
	s_load_dword s8, s[4:5], 0x0
	v_mov_b32_e32 v4, 0
	v_mov_b32_e32 v6, 0
	;; [unrolled: 1-line block ×3, first 2 shown]
	s_waitcnt lgkmcnt(0)
	s_mul_i32 s6, s6, s0
	v_add_u32_e32 v2, s6, v0
	v_cmp_gt_i32_e64 s[0:1], s8, v0
	v_ashrrev_i32_e32 v3, 31, v2
	s_and_saveexec_b64 s[2:3], s[0:1]
	s_cbranch_execz .LBB56_2
; %bb.1:
	s_load_dwordx2 s[6:7], s[4:5], 0x10
	v_lshlrev_b64 v[6:7], 3, v[2:3]
	s_waitcnt lgkmcnt(0)
	v_mov_b32_e32 v1, s7
	v_add_co_u32_e32 v6, vcc, s6, v6
	v_addc_co_u32_e32 v7, vcc, v1, v7, vcc
	global_load_dwordx2 v[6:7], v[6:7], off
.LBB56_2:
	s_or_b64 exec, exec, s[2:3]
	v_lshlrev_b32_e32 v1, 3, v0
	v_mov_b32_e32 v5, 0
	s_waitcnt vmcnt(0)
	ds_write_b64 v1, v[6:7]
	s_and_saveexec_b64 s[2:3], s[0:1]
	s_cbranch_execz .LBB56_4
; %bb.3:
	s_load_dwordx2 s[6:7], s[4:5], 0x18
	v_lshlrev_b64 v[4:5], 3, v[2:3]
	s_waitcnt lgkmcnt(0)
	v_mov_b32_e32 v6, s7
	v_add_co_u32_e32 v4, vcc, s6, v4
	v_addc_co_u32_e32 v5, vcc, v6, v5, vcc
	global_load_dwordx2 v[4:5], v[4:5], off
.LBB56_4:
	s_or_b64 exec, exec, s[2:3]
	s_load_dwordx2 s[2:3], s[4:5], 0x28
	s_waitcnt vmcnt(0)
	ds_write_b64 v1, v[4:5] offset:1024
	v_mov_b32_e32 v4, 0
	v_mov_b32_e32 v6, 0
	;; [unrolled: 1-line block ×3, first 2 shown]
	s_and_saveexec_b64 s[6:7], s[0:1]
	s_cbranch_execz .LBB56_6
; %bb.5:
	s_load_dwordx2 s[4:5], s[4:5], 0x20
	v_lshlrev_b64 v[6:7], 3, v[2:3]
	s_waitcnt lgkmcnt(0)
	v_mov_b32_e32 v5, s5
	v_add_co_u32_e32 v6, vcc, s4, v6
	v_addc_co_u32_e32 v7, vcc, v5, v7, vcc
	global_load_dwordx2 v[6:7], v[6:7], off
.LBB56_6:
	s_or_b64 exec, exec, s[6:7]
	v_or_b32_e32 v8, 0x400, v1
	v_or_b32_e32 v9, 0x800, v1
	v_mov_b32_e32 v5, 0
	s_waitcnt vmcnt(0)
	ds_write_b64 v1, v[6:7] offset:2048
	s_and_saveexec_b64 s[4:5], s[0:1]
	s_cbranch_execz .LBB56_8
; %bb.7:
	v_lshlrev_b64 v[4:5], 3, v[2:3]
	s_waitcnt lgkmcnt(0)
	v_mov_b32_e32 v6, s3
	v_add_co_u32_e32 v4, vcc, s2, v4
	v_addc_co_u32_e32 v5, vcc, v6, v5, vcc
	global_load_dwordx2 v[4:5], v[4:5], off
.LBB56_8:
	s_or_b64 exec, exec, s[4:5]
	s_waitcnt vmcnt(0)
	ds_write_b64 v1, v[4:5] offset:4096
	v_max_u32_e32 v4, 1, v0
	v_lshlrev_b32_e32 v5, 3, v4
	s_waitcnt lgkmcnt(0)
	s_barrier
	ds_read2_b64 v[10:13], v5 offset0:127 offset1:255
	s_add_i32 s4, s8, -1
	v_mov_b32_e32 v4, s4
	v_add_u32_e32 v6, 1, v0
	v_cmp_gt_i32_e32 vcc, s8, v6
	s_waitcnt lgkmcnt(0)
	v_mul_f32_e32 v14, v11, v11
	v_fmac_f32_e32 v14, v10, v10
	v_div_scale_f32 v15, s[4:5], v14, v14, 1.0
	v_rcp_f32_e32 v16, v15
	v_cndmask_b32_e32 v17, v4, v6, vcc
	ds_read_b64 v[6:7], v1
	v_lshlrev_b32_e32 v27, 3, v17
	v_fma_f32 v19, -v15, v16, 1.0
	v_fmac_f32_e32 v16, v19, v16
	v_div_scale_f32 v19, vcc, 1.0, v14, 1.0
	v_mul_f32_e32 v20, v19, v16
	v_fma_f32 v21, -v15, v20, v19
	v_fmac_f32_e32 v20, v21, v16
	v_fma_f32 v15, -v15, v20, v19
	v_div_fmas_f32 v15, v15, v16, v20
	v_add_u32_e32 v18, -8, v5
	v_div_fixup_f32 v19, v15, v14, 1.0
	ds_read2st64_b64 v[14:17], v27 offset1:2
	ds_read_b64 v[20:21], v18
	ds_read_b64 v[22:23], v5 offset:4088
	ds_read_b64 v[24:25], v1 offset:4096
	s_waitcnt lgkmcnt(4)
	v_mul_f32_e32 v5, v11, v7
	v_fmac_f32_e32 v5, v6, v10
	v_mul_f32_e32 v26, v19, v5
	s_waitcnt lgkmcnt(3)
	v_mul_f32_e32 v5, v17, v17
	v_fmac_f32_e32 v5, v16, v16
	v_div_scale_f32 v18, s[4:5], v5, v5, 1.0
	v_rcp_f32_e32 v28, v18
	v_mul_f32_e64 v6, v11, -v6
	v_fmac_f32_e32 v6, v7, v10
	v_mul_f32_e32 v6, v6, v19
	v_fma_f32 v7, -v18, v28, 1.0
	v_fmac_f32_e32 v28, v7, v28
	v_div_scale_f32 v7, vcc, 1.0, v5, 1.0
	v_mul_f32_e32 v19, v7, v28
	v_fma_f32 v10, -v18, v19, v7
	v_fmac_f32_e32 v19, v10, v28
	ds_read_b64 v[10:11], v9
	v_fma_f32 v7, -v18, v19, v7
	v_div_fmas_f32 v7, v7, v28, v19
	ds_read_b64 v[28:29], v8
	v_div_fixup_f32 v5, v7, v5, 1.0
	s_waitcnt lgkmcnt(1)
	v_mul_f32_e32 v7, v17, v11
	v_fmac_f32_e32 v7, v10, v16
	v_mul_f32_e32 v30, v5, v7
	v_mul_f32_e64 v7, v17, -v10
	v_fmac_f32_e32 v7, v11, v16
	ds_read2st64_b64 v[16:19], v27 offset0:4 offset1:8
	v_pk_mul_f32 v[32:33], v[6:7], v[12:13] op_sel:[0,1] op_sel_hi:[0,0] neg_lo:[0,1]
	v_mul_f32_e32 v10, v7, v5
	v_pk_fma_f32 v[12:13], v[12:13], v[26:27], v[32:33] op_sel_hi:[1,0,1]
	s_waitcnt lgkmcnt(1)
	v_pk_add_f32 v[12:13], v[28:29], v[12:13] neg_lo:[0,1] neg_hi:[0,1]
	v_pk_mul_f32 v[28:29], v[10:11], v[14:15] op_sel:[0,1] op_sel_hi:[0,0] neg_lo:[0,1]
	v_pk_fma_f32 v[14:15], v[14:15], v[30:31], v[28:29] op_sel_hi:[1,0,1]
	v_pk_add_f32 v[12:13], v[12:13], v[14:15] neg_lo:[0,1] neg_hi:[0,1]
	v_pk_mul_f32 v[14:15], v[6:7], v[22:23] op_sel:[0,1] op_sel_hi:[0,0] neg_lo:[0,1]
	v_pk_fma_f32 v[14:15], v[22:23], v[26:27], v[14:15] op_sel_hi:[1,0,1]
	s_waitcnt lgkmcnt(0)
	v_pk_mul_f32 v[22:23], v[10:11], v[18:19] op_sel:[0,1] op_sel_hi:[0,0] neg_lo:[0,1]
	v_pk_mul_f32 v[10:11], v[10:11], v[16:17] op_sel:[0,1] op_sel_hi:[0,0] neg_hi:[0,1]
	v_max_u32_e32 v5, 2, v0
	v_pk_add_f32 v[14:15], v[24:25], v[14:15] neg_lo:[0,1] neg_hi:[0,1]
	v_pk_fma_f32 v[18:19], v[18:19], v[30:31], v[22:23] op_sel_hi:[1,0,1]
	v_pk_mul_f32 v[6:7], v[6:7], v[20:21] op_sel:[0,1] op_sel_hi:[0,0] neg_hi:[0,1]
	v_pk_fma_f32 v[10:11], v[16:17], v[30:31], v[10:11] op_sel_hi:[1,0,1] neg_lo:[1,0,0] neg_hi:[1,0,0]
	v_lshlrev_b32_e32 v5, 3, v5
	v_pk_add_f32 v[14:15], v[14:15], v[18:19] neg_lo:[0,1] neg_hi:[0,1]
	v_pk_fma_f32 v[6:7], v[20:21], v[26:27], v[6:7] op_sel_hi:[1,0,1] neg_lo:[1,0,0] neg_hi:[1,0,0]
	s_barrier
	ds_write_b64 v8, v[12:13]
	ds_write_b64 v1, v[14:15] offset:4096
	ds_write_b64 v1, v[6:7]
	ds_write_b64 v9, v[10:11]
	s_waitcnt lgkmcnt(0)
	s_barrier
	ds_read2_b64 v[10:13], v5 offset0:126 offset1:254
	v_add_u32_e32 v6, 2, v0
	v_cmp_gt_i32_e32 vcc, s8, v6
	v_cndmask_b32_e32 v17, v4, v6, vcc
	ds_read_b64 v[6:7], v1
	s_waitcnt lgkmcnt(1)
	v_mul_f32_e32 v14, v11, v11
	v_fmac_f32_e32 v14, v10, v10
	v_div_scale_f32 v15, s[4:5], v14, v14, 1.0
	v_rcp_f32_e32 v16, v15
	v_lshlrev_b32_e32 v27, 3, v17
	v_add_u32_e32 v18, -16, v5
	v_fma_f32 v19, -v15, v16, 1.0
	v_fmac_f32_e32 v16, v19, v16
	v_div_scale_f32 v19, vcc, 1.0, v14, 1.0
	v_mul_f32_e32 v20, v19, v16
	v_fma_f32 v21, -v15, v20, v19
	v_fmac_f32_e32 v20, v21, v16
	v_fma_f32 v15, -v15, v20, v19
	v_div_fmas_f32 v15, v15, v16, v20
	v_div_fixup_f32 v19, v15, v14, 1.0
	ds_read2st64_b64 v[14:17], v27 offset1:2
	ds_read_b64 v[20:21], v18
	ds_read_b64 v[22:23], v5 offset:4080
	ds_read_b64 v[24:25], v1 offset:4096
	s_waitcnt lgkmcnt(4)
	v_mul_f32_e32 v5, v11, v7
	v_fmac_f32_e32 v5, v6, v10
	v_mul_f32_e32 v26, v19, v5
	s_waitcnt lgkmcnt(3)
	v_mul_f32_e32 v5, v17, v17
	v_fmac_f32_e32 v5, v16, v16
	v_div_scale_f32 v18, s[4:5], v5, v5, 1.0
	v_rcp_f32_e32 v28, v18
	v_mul_f32_e64 v6, v11, -v6
	v_fmac_f32_e32 v6, v7, v10
	v_mul_f32_e32 v6, v6, v19
	v_fma_f32 v7, -v18, v28, 1.0
	v_fmac_f32_e32 v28, v7, v28
	v_div_scale_f32 v7, vcc, 1.0, v5, 1.0
	v_mul_f32_e32 v19, v7, v28
	v_fma_f32 v10, -v18, v19, v7
	v_fmac_f32_e32 v19, v10, v28
	ds_read_b64 v[10:11], v9
	v_fma_f32 v7, -v18, v19, v7
	v_div_fmas_f32 v7, v7, v28, v19
	ds_read_b64 v[28:29], v8
	v_div_fixup_f32 v5, v7, v5, 1.0
	s_waitcnt lgkmcnt(1)
	v_mul_f32_e32 v7, v17, v11
	v_fmac_f32_e32 v7, v10, v16
	v_mul_f32_e32 v30, v5, v7
	v_mul_f32_e64 v7, v17, -v10
	v_fmac_f32_e32 v7, v11, v16
	ds_read2st64_b64 v[16:19], v27 offset0:4 offset1:8
	v_pk_mul_f32 v[32:33], v[6:7], v[12:13] op_sel:[0,1] op_sel_hi:[0,0] neg_lo:[0,1]
	v_mul_f32_e32 v10, v7, v5
	v_pk_fma_f32 v[12:13], v[12:13], v[26:27], v[32:33] op_sel_hi:[1,0,1]
	s_waitcnt lgkmcnt(1)
	v_pk_add_f32 v[12:13], v[28:29], v[12:13] neg_lo:[0,1] neg_hi:[0,1]
	v_pk_mul_f32 v[28:29], v[10:11], v[14:15] op_sel:[0,1] op_sel_hi:[0,0] neg_lo:[0,1]
	v_pk_fma_f32 v[14:15], v[14:15], v[30:31], v[28:29] op_sel_hi:[1,0,1]
	v_pk_add_f32 v[12:13], v[12:13], v[14:15] neg_lo:[0,1] neg_hi:[0,1]
	v_pk_mul_f32 v[14:15], v[6:7], v[22:23] op_sel:[0,1] op_sel_hi:[0,0] neg_lo:[0,1]
	v_pk_fma_f32 v[14:15], v[22:23], v[26:27], v[14:15] op_sel_hi:[1,0,1]
	s_waitcnt lgkmcnt(0)
	v_pk_mul_f32 v[22:23], v[10:11], v[18:19] op_sel:[0,1] op_sel_hi:[0,0] neg_lo:[0,1]
	v_pk_mul_f32 v[10:11], v[10:11], v[16:17] op_sel:[0,1] op_sel_hi:[0,0] neg_hi:[0,1]
	v_max_u32_e32 v5, 4, v0
	v_pk_add_f32 v[14:15], v[24:25], v[14:15] neg_lo:[0,1] neg_hi:[0,1]
	v_pk_fma_f32 v[18:19], v[18:19], v[30:31], v[22:23] op_sel_hi:[1,0,1]
	v_pk_mul_f32 v[6:7], v[6:7], v[20:21] op_sel:[0,1] op_sel_hi:[0,0] neg_hi:[0,1]
	v_pk_fma_f32 v[10:11], v[16:17], v[30:31], v[10:11] op_sel_hi:[1,0,1] neg_lo:[1,0,0] neg_hi:[1,0,0]
	v_lshlrev_b32_e32 v5, 3, v5
	v_pk_add_f32 v[14:15], v[14:15], v[18:19] neg_lo:[0,1] neg_hi:[0,1]
	v_pk_fma_f32 v[6:7], v[20:21], v[26:27], v[6:7] op_sel_hi:[1,0,1] neg_lo:[1,0,0] neg_hi:[1,0,0]
	s_barrier
	ds_write_b64 v8, v[12:13]
	ds_write_b64 v1, v[14:15] offset:4096
	ds_write_b64 v1, v[6:7]
	ds_write_b64 v9, v[10:11]
	s_waitcnt lgkmcnt(0)
	s_barrier
	ds_read2_b64 v[10:13], v5 offset0:124 offset1:252
	v_add_u32_e32 v6, 4, v0
	v_cmp_gt_i32_e32 vcc, s8, v6
	v_cndmask_b32_e32 v17, v4, v6, vcc
	ds_read_b64 v[6:7], v1
	s_waitcnt lgkmcnt(1)
	v_mul_f32_e32 v14, v11, v11
	v_fmac_f32_e32 v14, v10, v10
	v_div_scale_f32 v15, s[4:5], v14, v14, 1.0
	v_rcp_f32_e32 v16, v15
	v_lshlrev_b32_e32 v27, 3, v17
	v_subrev_u32_e32 v18, 32, v5
	v_fma_f32 v19, -v15, v16, 1.0
	v_fmac_f32_e32 v16, v19, v16
	v_div_scale_f32 v19, vcc, 1.0, v14, 1.0
	v_mul_f32_e32 v20, v19, v16
	v_fma_f32 v21, -v15, v20, v19
	v_fmac_f32_e32 v20, v21, v16
	v_fma_f32 v15, -v15, v20, v19
	v_div_fmas_f32 v15, v15, v16, v20
	v_div_fixup_f32 v19, v15, v14, 1.0
	ds_read2st64_b64 v[14:17], v27 offset1:2
	ds_read_b64 v[20:21], v18
	ds_read_b64 v[22:23], v5 offset:4064
	ds_read_b64 v[24:25], v1 offset:4096
	s_waitcnt lgkmcnt(4)
	v_mul_f32_e32 v5, v11, v7
	v_fmac_f32_e32 v5, v6, v10
	v_mul_f32_e32 v26, v19, v5
	s_waitcnt lgkmcnt(3)
	v_mul_f32_e32 v5, v17, v17
	v_fmac_f32_e32 v5, v16, v16
	v_div_scale_f32 v18, s[4:5], v5, v5, 1.0
	v_rcp_f32_e32 v28, v18
	v_mul_f32_e64 v6, v11, -v6
	v_fmac_f32_e32 v6, v7, v10
	v_mul_f32_e32 v6, v6, v19
	v_fma_f32 v7, -v18, v28, 1.0
	v_fmac_f32_e32 v28, v7, v28
	v_div_scale_f32 v7, vcc, 1.0, v5, 1.0
	v_mul_f32_e32 v19, v7, v28
	v_fma_f32 v10, -v18, v19, v7
	v_fmac_f32_e32 v19, v10, v28
	ds_read_b64 v[10:11], v9
	v_fma_f32 v7, -v18, v19, v7
	v_div_fmas_f32 v7, v7, v28, v19
	ds_read_b64 v[28:29], v8
	v_div_fixup_f32 v5, v7, v5, 1.0
	s_waitcnt lgkmcnt(1)
	v_mul_f32_e32 v7, v17, v11
	v_fmac_f32_e32 v7, v10, v16
	v_mul_f32_e32 v30, v5, v7
	v_mul_f32_e64 v7, v17, -v10
	v_fmac_f32_e32 v7, v11, v16
	ds_read2st64_b64 v[16:19], v27 offset0:4 offset1:8
	v_pk_mul_f32 v[32:33], v[6:7], v[12:13] op_sel:[0,1] op_sel_hi:[0,0] neg_lo:[0,1]
	v_mul_f32_e32 v10, v7, v5
	v_pk_fma_f32 v[12:13], v[12:13], v[26:27], v[32:33] op_sel_hi:[1,0,1]
	s_waitcnt lgkmcnt(1)
	v_pk_add_f32 v[12:13], v[28:29], v[12:13] neg_lo:[0,1] neg_hi:[0,1]
	v_pk_mul_f32 v[28:29], v[10:11], v[14:15] op_sel:[0,1] op_sel_hi:[0,0] neg_lo:[0,1]
	v_pk_fma_f32 v[14:15], v[14:15], v[30:31], v[28:29] op_sel_hi:[1,0,1]
	v_pk_add_f32 v[12:13], v[12:13], v[14:15] neg_lo:[0,1] neg_hi:[0,1]
	v_pk_mul_f32 v[14:15], v[6:7], v[22:23] op_sel:[0,1] op_sel_hi:[0,0] neg_lo:[0,1]
	v_pk_fma_f32 v[14:15], v[22:23], v[26:27], v[14:15] op_sel_hi:[1,0,1]
	s_waitcnt lgkmcnt(0)
	v_pk_mul_f32 v[22:23], v[10:11], v[18:19] op_sel:[0,1] op_sel_hi:[0,0] neg_lo:[0,1]
	v_pk_mul_f32 v[10:11], v[10:11], v[16:17] op_sel:[0,1] op_sel_hi:[0,0] neg_hi:[0,1]
	v_max_u32_e32 v5, 8, v0
	v_pk_add_f32 v[14:15], v[24:25], v[14:15] neg_lo:[0,1] neg_hi:[0,1]
	v_pk_fma_f32 v[18:19], v[18:19], v[30:31], v[22:23] op_sel_hi:[1,0,1]
	v_pk_mul_f32 v[6:7], v[6:7], v[20:21] op_sel:[0,1] op_sel_hi:[0,0] neg_hi:[0,1]
	v_pk_fma_f32 v[10:11], v[16:17], v[30:31], v[10:11] op_sel_hi:[1,0,1] neg_lo:[1,0,0] neg_hi:[1,0,0]
	v_lshlrev_b32_e32 v5, 3, v5
	v_pk_add_f32 v[14:15], v[14:15], v[18:19] neg_lo:[0,1] neg_hi:[0,1]
	v_pk_fma_f32 v[6:7], v[20:21], v[26:27], v[6:7] op_sel_hi:[1,0,1] neg_lo:[1,0,0] neg_hi:[1,0,0]
	s_barrier
	ds_write_b64 v8, v[12:13]
	ds_write_b64 v1, v[14:15] offset:4096
	ds_write_b64 v1, v[6:7]
	ds_write_b64 v9, v[10:11]
	s_waitcnt lgkmcnt(0)
	s_barrier
	ds_read2_b64 v[10:13], v5 offset0:120 offset1:248
	v_add_u32_e32 v6, 8, v0
	v_cmp_gt_i32_e32 vcc, s8, v6
	v_cndmask_b32_e32 v17, v4, v6, vcc
	ds_read_b64 v[6:7], v1
	s_waitcnt lgkmcnt(1)
	v_mul_f32_e32 v14, v11, v11
	v_fmac_f32_e32 v14, v10, v10
	v_div_scale_f32 v15, s[4:5], v14, v14, 1.0
	v_rcp_f32_e32 v16, v15
	v_lshlrev_b32_e32 v27, 3, v17
	v_subrev_u32_e32 v18, 64, v5
	v_fma_f32 v19, -v15, v16, 1.0
	v_fmac_f32_e32 v16, v19, v16
	v_div_scale_f32 v19, vcc, 1.0, v14, 1.0
	v_mul_f32_e32 v20, v19, v16
	v_fma_f32 v21, -v15, v20, v19
	v_fmac_f32_e32 v20, v21, v16
	v_fma_f32 v15, -v15, v20, v19
	v_div_fmas_f32 v15, v15, v16, v20
	v_div_fixup_f32 v19, v15, v14, 1.0
	ds_read2st64_b64 v[14:17], v27 offset1:2
	ds_read_b64 v[20:21], v18
	ds_read_b64 v[22:23], v5 offset:4032
	ds_read_b64 v[24:25], v1 offset:4096
	s_waitcnt lgkmcnt(4)
	v_mul_f32_e32 v5, v11, v7
	v_fmac_f32_e32 v5, v6, v10
	v_mul_f32_e32 v26, v19, v5
	s_waitcnt lgkmcnt(3)
	v_mul_f32_e32 v5, v17, v17
	v_fmac_f32_e32 v5, v16, v16
	v_div_scale_f32 v18, s[4:5], v5, v5, 1.0
	v_rcp_f32_e32 v28, v18
	v_mul_f32_e64 v6, v11, -v6
	v_fmac_f32_e32 v6, v7, v10
	v_mul_f32_e32 v6, v6, v19
	v_fma_f32 v7, -v18, v28, 1.0
	v_fmac_f32_e32 v28, v7, v28
	v_div_scale_f32 v7, vcc, 1.0, v5, 1.0
	v_mul_f32_e32 v19, v7, v28
	v_fma_f32 v10, -v18, v19, v7
	v_fmac_f32_e32 v19, v10, v28
	ds_read_b64 v[10:11], v9
	v_fma_f32 v7, -v18, v19, v7
	v_div_fmas_f32 v7, v7, v28, v19
	ds_read_b64 v[28:29], v8
	v_div_fixup_f32 v5, v7, v5, 1.0
	s_waitcnt lgkmcnt(1)
	v_mul_f32_e32 v7, v17, v11
	v_fmac_f32_e32 v7, v10, v16
	v_mul_f32_e32 v30, v5, v7
	v_mul_f32_e64 v7, v17, -v10
	v_fmac_f32_e32 v7, v11, v16
	ds_read2st64_b64 v[16:19], v27 offset0:4 offset1:8
	v_pk_mul_f32 v[32:33], v[6:7], v[12:13] op_sel:[0,1] op_sel_hi:[0,0] neg_lo:[0,1]
	v_mul_f32_e32 v10, v7, v5
	v_pk_fma_f32 v[12:13], v[12:13], v[26:27], v[32:33] op_sel_hi:[1,0,1]
	s_waitcnt lgkmcnt(1)
	v_pk_add_f32 v[12:13], v[28:29], v[12:13] neg_lo:[0,1] neg_hi:[0,1]
	v_pk_mul_f32 v[28:29], v[10:11], v[14:15] op_sel:[0,1] op_sel_hi:[0,0] neg_lo:[0,1]
	v_pk_fma_f32 v[14:15], v[14:15], v[30:31], v[28:29] op_sel_hi:[1,0,1]
	v_pk_add_f32 v[12:13], v[12:13], v[14:15] neg_lo:[0,1] neg_hi:[0,1]
	v_pk_mul_f32 v[14:15], v[6:7], v[22:23] op_sel:[0,1] op_sel_hi:[0,0] neg_lo:[0,1]
	v_pk_fma_f32 v[14:15], v[22:23], v[26:27], v[14:15] op_sel_hi:[1,0,1]
	s_waitcnt lgkmcnt(0)
	v_pk_mul_f32 v[22:23], v[10:11], v[18:19] op_sel:[0,1] op_sel_hi:[0,0] neg_lo:[0,1]
	v_pk_mul_f32 v[10:11], v[10:11], v[16:17] op_sel:[0,1] op_sel_hi:[0,0] neg_hi:[0,1]
	v_max_u32_e32 v5, 16, v0
	v_pk_add_f32 v[14:15], v[24:25], v[14:15] neg_lo:[0,1] neg_hi:[0,1]
	v_pk_fma_f32 v[18:19], v[18:19], v[30:31], v[22:23] op_sel_hi:[1,0,1]
	v_pk_mul_f32 v[6:7], v[6:7], v[20:21] op_sel:[0,1] op_sel_hi:[0,0] neg_hi:[0,1]
	v_pk_fma_f32 v[10:11], v[16:17], v[30:31], v[10:11] op_sel_hi:[1,0,1] neg_lo:[1,0,0] neg_hi:[1,0,0]
	v_lshlrev_b32_e32 v5, 3, v5
	v_pk_add_f32 v[14:15], v[14:15], v[18:19] neg_lo:[0,1] neg_hi:[0,1]
	v_pk_fma_f32 v[6:7], v[20:21], v[26:27], v[6:7] op_sel_hi:[1,0,1] neg_lo:[1,0,0] neg_hi:[1,0,0]
	s_barrier
	ds_write_b64 v8, v[12:13]
	ds_write_b64 v1, v[14:15] offset:4096
	ds_write_b64 v1, v[6:7]
	ds_write_b64 v9, v[10:11]
	s_waitcnt lgkmcnt(0)
	s_barrier
	ds_read2_b64 v[10:13], v5 offset0:112 offset1:240
	v_add_u32_e32 v6, 16, v0
	v_cmp_gt_i32_e32 vcc, s8, v6
	v_cndmask_b32_e32 v17, v4, v6, vcc
	ds_read_b64 v[6:7], v1
	s_waitcnt lgkmcnt(1)
	v_mul_f32_e32 v14, v11, v11
	v_fmac_f32_e32 v14, v10, v10
	v_div_scale_f32 v15, s[4:5], v14, v14, 1.0
	v_rcp_f32_e32 v16, v15
	v_lshlrev_b32_e32 v27, 3, v17
	v_add_u32_e32 v18, 0xffffff80, v5
	v_fma_f32 v19, -v15, v16, 1.0
	v_fmac_f32_e32 v16, v19, v16
	v_div_scale_f32 v19, vcc, 1.0, v14, 1.0
	v_mul_f32_e32 v20, v19, v16
	v_fma_f32 v21, -v15, v20, v19
	v_fmac_f32_e32 v20, v21, v16
	v_fma_f32 v15, -v15, v20, v19
	v_div_fmas_f32 v15, v15, v16, v20
	v_div_fixup_f32 v19, v15, v14, 1.0
	ds_read2st64_b64 v[14:17], v27 offset1:2
	ds_read_b64 v[20:21], v18
	ds_read_b64 v[22:23], v5 offset:3968
	ds_read_b64 v[24:25], v1 offset:4096
	s_waitcnt lgkmcnt(4)
	v_mul_f32_e32 v5, v11, v7
	v_fmac_f32_e32 v5, v6, v10
	v_mul_f32_e32 v26, v19, v5
	s_waitcnt lgkmcnt(3)
	v_mul_f32_e32 v5, v17, v17
	v_fmac_f32_e32 v5, v16, v16
	v_div_scale_f32 v18, s[4:5], v5, v5, 1.0
	v_rcp_f32_e32 v28, v18
	v_mul_f32_e64 v6, v11, -v6
	v_fmac_f32_e32 v6, v7, v10
	v_mul_f32_e32 v6, v6, v19
	v_fma_f32 v7, -v18, v28, 1.0
	v_fmac_f32_e32 v28, v7, v28
	v_div_scale_f32 v7, vcc, 1.0, v5, 1.0
	v_mul_f32_e32 v19, v7, v28
	v_fma_f32 v10, -v18, v19, v7
	v_fmac_f32_e32 v19, v10, v28
	ds_read_b64 v[10:11], v9
	v_fma_f32 v7, -v18, v19, v7
	v_div_fmas_f32 v7, v7, v28, v19
	ds_read_b64 v[28:29], v8
	v_div_fixup_f32 v5, v7, v5, 1.0
	s_waitcnt lgkmcnt(1)
	v_mul_f32_e32 v7, v17, v11
	v_fmac_f32_e32 v7, v10, v16
	v_mul_f32_e32 v30, v5, v7
	v_mul_f32_e64 v7, v17, -v10
	v_fmac_f32_e32 v7, v11, v16
	ds_read2st64_b64 v[16:19], v27 offset0:4 offset1:8
	v_pk_mul_f32 v[32:33], v[6:7], v[12:13] op_sel:[0,1] op_sel_hi:[0,0] neg_lo:[0,1]
	v_mul_f32_e32 v10, v7, v5
	v_pk_fma_f32 v[12:13], v[12:13], v[26:27], v[32:33] op_sel_hi:[1,0,1]
	s_waitcnt lgkmcnt(1)
	v_pk_add_f32 v[12:13], v[28:29], v[12:13] neg_lo:[0,1] neg_hi:[0,1]
	v_pk_mul_f32 v[28:29], v[10:11], v[14:15] op_sel:[0,1] op_sel_hi:[0,0] neg_lo:[0,1]
	v_pk_fma_f32 v[14:15], v[14:15], v[30:31], v[28:29] op_sel_hi:[1,0,1]
	v_pk_add_f32 v[12:13], v[12:13], v[14:15] neg_lo:[0,1] neg_hi:[0,1]
	v_pk_mul_f32 v[14:15], v[6:7], v[22:23] op_sel:[0,1] op_sel_hi:[0,0] neg_lo:[0,1]
	v_pk_fma_f32 v[14:15], v[22:23], v[26:27], v[14:15] op_sel_hi:[1,0,1]
	s_waitcnt lgkmcnt(0)
	v_pk_mul_f32 v[22:23], v[10:11], v[18:19] op_sel:[0,1] op_sel_hi:[0,0] neg_lo:[0,1]
	v_pk_mul_f32 v[10:11], v[10:11], v[16:17] op_sel:[0,1] op_sel_hi:[0,0] neg_hi:[0,1]
	v_max_u32_e32 v5, 32, v0
	v_pk_add_f32 v[14:15], v[24:25], v[14:15] neg_lo:[0,1] neg_hi:[0,1]
	v_pk_fma_f32 v[18:19], v[18:19], v[30:31], v[22:23] op_sel_hi:[1,0,1]
	v_pk_mul_f32 v[6:7], v[6:7], v[20:21] op_sel:[0,1] op_sel_hi:[0,0] neg_hi:[0,1]
	v_pk_fma_f32 v[10:11], v[16:17], v[30:31], v[10:11] op_sel_hi:[1,0,1] neg_lo:[1,0,0] neg_hi:[1,0,0]
	v_lshlrev_b32_e32 v16, 3, v5
	v_pk_add_f32 v[14:15], v[14:15], v[18:19] neg_lo:[0,1] neg_hi:[0,1]
	v_pk_fma_f32 v[6:7], v[20:21], v[26:27], v[6:7] op_sel_hi:[1,0,1] neg_lo:[1,0,0] neg_hi:[1,0,0]
	s_barrier
	ds_write_b64 v8, v[12:13]
	ds_write_b64 v1, v[14:15] offset:4096
	ds_write_b64 v1, v[6:7]
	ds_write_b64 v9, v[10:11]
	s_waitcnt lgkmcnt(0)
	s_barrier
	ds_read2_b64 v[10:13], v16 offset0:96 offset1:224
	v_add_u32_e32 v5, 32, v0
	v_cmp_gt_i32_e32 vcc, s8, v5
	v_cndmask_b32_e32 v4, v4, v5, vcc
	ds_read_b64 v[14:15], v1
	s_waitcnt lgkmcnt(1)
	v_mul_f32_e32 v6, v11, v11
	v_fmac_f32_e32 v6, v10, v10
	v_div_scale_f32 v7, s[4:5], v6, v6, 1.0
	v_rcp_f32_e32 v17, v7
	v_add_u32_e32 v18, 0xffffff00, v16
	v_lshlrev_b32_e32 v25, 3, v4
	v_fma_f32 v5, -v7, v17, 1.0
	v_fmac_f32_e32 v17, v5, v17
	v_div_scale_f32 v5, vcc, 1.0, v6, 1.0
	v_mul_f32_e32 v19, v5, v17
	v_fma_f32 v20, -v7, v19, v5
	v_fmac_f32_e32 v19, v20, v17
	v_fma_f32 v5, -v7, v19, v5
	v_div_fmas_f32 v5, v5, v17, v19
	v_div_fixup_f32 v17, v5, v6, 1.0
	ds_read2st64_b64 v[4:7], v25 offset1:2
	ds_read_b64 v[18:19], v18
	ds_read_b64 v[20:21], v16 offset:3840
	ds_read_b64 v[22:23], v1 offset:4096
	s_waitcnt lgkmcnt(4)
	v_mul_f32_e32 v16, v11, v15
	v_fmac_f32_e32 v16, v14, v10
	v_mul_f32_e32 v24, v17, v16
	s_waitcnt lgkmcnt(3)
	v_mul_f32_e32 v16, v7, v7
	v_fmac_f32_e32 v16, v6, v6
	v_div_scale_f32 v26, s[4:5], v16, v16, 1.0
	v_rcp_f32_e32 v27, v26
	v_mul_f32_e64 v11, v11, -v14
	v_fmac_f32_e32 v11, v15, v10
	v_mul_f32_e32 v10, v11, v17
	v_fma_f32 v11, -v26, v27, 1.0
	v_fmac_f32_e32 v27, v11, v27
	v_div_scale_f32 v11, vcc, 1.0, v16, 1.0
	v_mul_f32_e32 v17, v11, v27
	v_fma_f32 v14, -v26, v17, v11
	v_fmac_f32_e32 v17, v14, v27
	ds_read_b64 v[14:15], v9
	v_fma_f32 v11, -v26, v17, v11
	v_div_fmas_f32 v11, v11, v27, v17
	ds_read_b64 v[26:27], v8
	v_div_fixup_f32 v11, v11, v16, 1.0
	s_waitcnt lgkmcnt(1)
	v_mul_f32_e32 v16, v7, v15
	v_fmac_f32_e32 v16, v14, v6
	v_mul_f32_e64 v7, v7, -v14
	v_mul_f32_e32 v28, v11, v16
	v_fmac_f32_e32 v7, v15, v6
	ds_read2st64_b64 v[14:17], v25 offset0:4 offset1:8
	v_pk_mul_f32 v[30:31], v[10:11], v[12:13] op_sel:[0,1] op_sel_hi:[0,0] neg_lo:[0,1]
	v_mul_f32_e32 v6, v7, v11
	v_pk_fma_f32 v[12:13], v[12:13], v[24:25], v[30:31] op_sel_hi:[1,0,1]
	s_waitcnt lgkmcnt(1)
	v_pk_add_f32 v[12:13], v[26:27], v[12:13] neg_lo:[0,1] neg_hi:[0,1]
	v_pk_mul_f32 v[26:27], v[6:7], v[4:5] op_sel:[0,1] op_sel_hi:[0,0] neg_lo:[0,1]
	v_pk_fma_f32 v[4:5], v[4:5], v[28:29], v[26:27] op_sel_hi:[1,0,1]
	v_pk_add_f32 v[4:5], v[12:13], v[4:5] neg_lo:[0,1] neg_hi:[0,1]
	v_pk_mul_f32 v[12:13], v[10:11], v[20:21] op_sel:[0,1] op_sel_hi:[0,0] neg_lo:[0,1]
	v_pk_fma_f32 v[12:13], v[20:21], v[24:25], v[12:13] op_sel_hi:[1,0,1]
	s_waitcnt lgkmcnt(0)
	v_pk_mul_f32 v[20:21], v[6:7], v[16:17] op_sel:[0,1] op_sel_hi:[0,0] neg_lo:[0,1]
	v_pk_add_f32 v[12:13], v[22:23], v[12:13] neg_lo:[0,1] neg_hi:[0,1]
	v_pk_fma_f32 v[16:17], v[16:17], v[28:29], v[20:21] op_sel_hi:[1,0,1]
	v_pk_mul_f32 v[10:11], v[10:11], v[18:19] op_sel:[0,1] op_sel_hi:[0,0] neg_hi:[0,1]
	v_pk_mul_f32 v[6:7], v[6:7], v[14:15] op_sel:[0,1] op_sel_hi:[0,0] neg_hi:[0,1]
	v_cmp_gt_u32_e32 vcc, 64, v0
	v_pk_add_f32 v[12:13], v[12:13], v[16:17] neg_lo:[0,1] neg_hi:[0,1]
	v_pk_fma_f32 v[10:11], v[18:19], v[24:25], v[10:11] op_sel_hi:[1,0,1] neg_lo:[1,0,0] neg_hi:[1,0,0]
	v_pk_fma_f32 v[6:7], v[14:15], v[28:29], v[6:7] op_sel_hi:[1,0,1] neg_lo:[1,0,0] neg_hi:[1,0,0]
	s_barrier
	ds_write_b64 v8, v[4:5]
	ds_write_b64 v1, v[12:13] offset:4096
	ds_write_b64 v1, v[10:11]
	ds_write_b64 v9, v[6:7]
	s_waitcnt lgkmcnt(0)
	s_barrier
	s_and_saveexec_b64 s[4:5], vcc
	s_cbranch_execz .LBB56_14
; %bb.9:
	v_or_b32_e32 v6, 64, v0
	v_or_b32_e32 v7, 0x1000, v1
	v_cmp_le_i32_e32 vcc, s8, v6
                                        ; implicit-def: $vgpr4_vgpr5
	s_and_saveexec_b64 s[6:7], vcc
	s_xor_b64 s[6:7], exec, s[6:7]
	s_cbranch_execz .LBB56_11
; %bb.10:
	ds_read_b64 v[4:5], v8
	ds_read_b64 v[6:7], v7
	s_waitcnt lgkmcnt(1)
	v_mul_f32_e32 v10, v5, v5
	v_fmac_f32_e32 v10, v4, v4
	v_div_scale_f32 v11, s[8:9], v10, v10, 1.0
	v_rcp_f32_e32 v12, v11
	v_div_scale_f32 v13, vcc, 1.0, v10, 1.0
	s_waitcnt lgkmcnt(0)
	v_pk_mul_f32 v[8:9], v[4:5], v[6:7] op_sel:[1,1] op_sel_hi:[1,0] neg_hi:[0,1]
	v_fma_f32 v14, -v11, v12, 1.0
	v_fmac_f32_e32 v12, v14, v12
	v_mul_f32_e32 v14, v13, v12
	v_fma_f32 v15, -v11, v14, v13
	v_fmac_f32_e32 v14, v15, v12
	v_fma_f32 v11, -v11, v14, v13
	v_div_fmas_f32 v11, v11, v12, v14
	v_div_fixup_f32 v10, v11, v10, 1.0
	v_pk_fma_f32 v[4:5], v[6:7], v[4:5], v[8:9] op_sel_hi:[1,0,1]
	v_pk_mul_f32 v[4:5], v[10:11], v[4:5] op_sel_hi:[0,1]
                                        ; implicit-def: $vgpr8
                                        ; implicit-def: $vgpr9
                                        ; implicit-def: $vgpr7
                                        ; implicit-def: $vgpr6
.LBB56_11:
	s_andn2_saveexec_b64 s[6:7], s[6:7]
	s_cbranch_execz .LBB56_13
; %bb.12:
	ds_read2st64_b64 v[10:13], v8 offset1:1
	ds_read_b64 v[4:5], v9
	ds_read_b64 v[8:9], v1 offset:512
	s_waitcnt lgkmcnt(2)
	v_pk_mul_f32 v[14:15], v[10:11], v[12:13] op_sel:[1,1] op_sel_hi:[1,0] neg_lo:[0,1]
	v_pk_fma_f32 v[14:15], v[12:13], v[10:11], v[14:15] op_sel_hi:[1,0,1]
	s_waitcnt lgkmcnt(0)
	v_pk_mul_f32 v[16:17], v[8:9], v[4:5] op_sel:[1,1] op_sel_hi:[1,0] neg_lo:[0,1]
	v_pk_fma_f32 v[16:17], v[4:5], v[8:9], v[16:17] op_sel_hi:[1,0,1]
	v_pk_add_f32 v[18:19], v[14:15], v[16:17] neg_lo:[0,1] neg_hi:[0,1]
	v_mul_f32_e32 v0, v19, v19
	v_fmac_f32_e32 v0, v18, v18
	v_div_scale_f32 v20, s[8:9], v0, v0, 1.0
	v_rcp_f32_e32 v21, v20
	ds_read2st64_b64 v[14:17], v7 offset1:1
	v_fma_f32 v7, -v20, v21, 1.0
	v_fmac_f32_e32 v21, v7, v21
	v_div_scale_f32 v7, vcc, 1.0, v0, 1.0
	v_mul_f32_e32 v22, v7, v21
	v_fma_f32 v23, -v20, v22, v7
	v_fmac_f32_e32 v22, v23, v21
	v_fma_f32 v7, -v20, v22, v7
	v_div_fmas_f32 v7, v7, v21, v22
	s_waitcnt lgkmcnt(0)
	v_pk_mul_f32 v[20:21], v[14:15], v[12:13] op_sel:[1,1] op_sel_hi:[1,0] neg_lo:[0,1]
	v_pk_fma_f32 v[12:13], v[12:13], v[14:15], v[20:21] op_sel_hi:[1,0,1]
	v_pk_mul_f32 v[20:21], v[16:17], v[4:5] op_sel:[1,1] op_sel_hi:[1,0] neg_lo:[0,1]
	v_div_fixup_f32 v7, v7, v0, 1.0
	v_fma_f32 v0, 0, v19, v18
	v_fma_f32 v18, v18, 0, -v19
	v_pk_fma_f32 v[4:5], v[4:5], v[16:17], v[20:21] op_sel_hi:[1,0,1]
	v_mul_f32_e32 v18, v18, v7
	v_pk_add_f32 v[4:5], v[12:13], v[4:5] neg_lo:[0,1] neg_hi:[0,1]
	v_mul_f32_e32 v0, v0, v7
	v_pk_mul_f32 v[12:13], v[18:19], v[4:5] op_sel:[0,1] op_sel_hi:[0,0] neg_lo:[0,1]
	v_pk_fma_f32 v[4:5], v[4:5], v[0:1], v[12:13] op_sel_hi:[1,0,1]
	ds_write_b64 v1, v[4:5] offset:3072
	v_pk_mul_f32 v[4:5], v[10:11], v[16:17] op_sel:[1,1] op_sel_hi:[1,0] neg_lo:[0,1]
	v_pk_fma_f32 v[4:5], v[16:17], v[10:11], v[4:5] op_sel_hi:[1,0,1]
	v_pk_mul_f32 v[10:11], v[8:9], v[14:15] op_sel:[1,1] op_sel_hi:[1,0] neg_lo:[0,1]
	v_pk_fma_f32 v[8:9], v[14:15], v[8:9], v[10:11] op_sel_hi:[1,0,1]
	v_pk_add_f32 v[4:5], v[4:5], v[8:9] neg_lo:[0,1] neg_hi:[0,1]
	v_pk_mul_f32 v[8:9], v[18:19], v[4:5] op_sel:[0,1] op_sel_hi:[0,0] neg_lo:[0,1]
	v_pk_fma_f32 v[4:5], v[4:5], v[0:1], v[8:9] op_sel_hi:[1,0,1]
	v_mov_b32_e32 v0, v6
.LBB56_13:
	s_or_b64 exec, exec, s[6:7]
	v_lshlrev_b32_e32 v0, 3, v0
	ds_write_b64 v0, v[4:5] offset:3072
.LBB56_14:
	s_or_b64 exec, exec, s[4:5]
	s_waitcnt lgkmcnt(0)
	s_barrier
	s_and_saveexec_b64 s[4:5], s[0:1]
	s_cbranch_execz .LBB56_16
; %bb.15:
	ds_read_b64 v[0:1], v1 offset:3072
	v_lshlrev_b64 v[2:3], 3, v[2:3]
	v_mov_b32_e32 v4, s3
	v_add_co_u32_e32 v2, vcc, s2, v2
	v_addc_co_u32_e32 v3, vcc, v4, v3, vcc
	s_waitcnt lgkmcnt(0)
	global_store_dwordx2 v[2:3], v[0:1], off
.LBB56_16:
	s_endpgm
	.section	.rodata,"a",@progbits
	.p2align	6, 0x0
	.amdhsa_kernel _ZN9rocsparseL44gtsv_nopivot_strided_batch_pcr_shared_kernelILj128E21rocsparse_complex_numIfEEEviiiPKT0_S5_S5_PS3_
		.amdhsa_group_segment_fixed_size 5120
		.amdhsa_private_segment_fixed_size 0
		.amdhsa_kernarg_size 48
		.amdhsa_user_sgpr_count 6
		.amdhsa_user_sgpr_private_segment_buffer 1
		.amdhsa_user_sgpr_dispatch_ptr 0
		.amdhsa_user_sgpr_queue_ptr 0
		.amdhsa_user_sgpr_kernarg_segment_ptr 1
		.amdhsa_user_sgpr_dispatch_id 0
		.amdhsa_user_sgpr_flat_scratch_init 0
		.amdhsa_user_sgpr_kernarg_preload_length 0
		.amdhsa_user_sgpr_kernarg_preload_offset 0
		.amdhsa_user_sgpr_private_segment_size 0
		.amdhsa_uses_dynamic_stack 0
		.amdhsa_system_sgpr_private_segment_wavefront_offset 0
		.amdhsa_system_sgpr_workgroup_id_x 1
		.amdhsa_system_sgpr_workgroup_id_y 0
		.amdhsa_system_sgpr_workgroup_id_z 0
		.amdhsa_system_sgpr_workgroup_info 0
		.amdhsa_system_vgpr_workitem_id 0
		.amdhsa_next_free_vgpr 34
		.amdhsa_next_free_sgpr 10
		.amdhsa_accum_offset 36
		.amdhsa_reserve_vcc 1
		.amdhsa_reserve_flat_scratch 0
		.amdhsa_float_round_mode_32 0
		.amdhsa_float_round_mode_16_64 0
		.amdhsa_float_denorm_mode_32 3
		.amdhsa_float_denorm_mode_16_64 3
		.amdhsa_dx10_clamp 1
		.amdhsa_ieee_mode 1
		.amdhsa_fp16_overflow 0
		.amdhsa_tg_split 0
		.amdhsa_exception_fp_ieee_invalid_op 0
		.amdhsa_exception_fp_denorm_src 0
		.amdhsa_exception_fp_ieee_div_zero 0
		.amdhsa_exception_fp_ieee_overflow 0
		.amdhsa_exception_fp_ieee_underflow 0
		.amdhsa_exception_fp_ieee_inexact 0
		.amdhsa_exception_int_div_zero 0
	.end_amdhsa_kernel
	.section	.text._ZN9rocsparseL44gtsv_nopivot_strided_batch_pcr_shared_kernelILj128E21rocsparse_complex_numIfEEEviiiPKT0_S5_S5_PS3_,"axG",@progbits,_ZN9rocsparseL44gtsv_nopivot_strided_batch_pcr_shared_kernelILj128E21rocsparse_complex_numIfEEEviiiPKT0_S5_S5_PS3_,comdat
.Lfunc_end56:
	.size	_ZN9rocsparseL44gtsv_nopivot_strided_batch_pcr_shared_kernelILj128E21rocsparse_complex_numIfEEEviiiPKT0_S5_S5_PS3_, .Lfunc_end56-_ZN9rocsparseL44gtsv_nopivot_strided_batch_pcr_shared_kernelILj128E21rocsparse_complex_numIfEEEviiiPKT0_S5_S5_PS3_
                                        ; -- End function
	.section	.AMDGPU.csdata,"",@progbits
; Kernel info:
; codeLenInByte = 4012
; NumSgprs: 14
; NumVgprs: 34
; NumAgprs: 0
; TotalNumVgprs: 34
; ScratchSize: 0
; MemoryBound: 0
; FloatMode: 240
; IeeeMode: 1
; LDSByteSize: 5120 bytes/workgroup (compile time only)
; SGPRBlocks: 1
; VGPRBlocks: 4
; NumSGPRsForWavesPerEU: 14
; NumVGPRsForWavesPerEU: 34
; AccumOffset: 36
; Occupancy: 6
; WaveLimiterHint : 0
; COMPUTE_PGM_RSRC2:SCRATCH_EN: 0
; COMPUTE_PGM_RSRC2:USER_SGPR: 6
; COMPUTE_PGM_RSRC2:TRAP_HANDLER: 0
; COMPUTE_PGM_RSRC2:TGID_X_EN: 1
; COMPUTE_PGM_RSRC2:TGID_Y_EN: 0
; COMPUTE_PGM_RSRC2:TGID_Z_EN: 0
; COMPUTE_PGM_RSRC2:TIDIG_COMP_CNT: 0
; COMPUTE_PGM_RSRC3_GFX90A:ACCUM_OFFSET: 8
; COMPUTE_PGM_RSRC3_GFX90A:TG_SPLIT: 0
	.section	.text._ZN9rocsparseL44gtsv_nopivot_strided_batch_pcr_shared_kernelILj256E21rocsparse_complex_numIfEEEviiiPKT0_S5_S5_PS3_,"axG",@progbits,_ZN9rocsparseL44gtsv_nopivot_strided_batch_pcr_shared_kernelILj256E21rocsparse_complex_numIfEEEviiiPKT0_S5_S5_PS3_,comdat
	.globl	_ZN9rocsparseL44gtsv_nopivot_strided_batch_pcr_shared_kernelILj256E21rocsparse_complex_numIfEEEviiiPKT0_S5_S5_PS3_ ; -- Begin function _ZN9rocsparseL44gtsv_nopivot_strided_batch_pcr_shared_kernelILj256E21rocsparse_complex_numIfEEEviiiPKT0_S5_S5_PS3_
	.p2align	8
	.type	_ZN9rocsparseL44gtsv_nopivot_strided_batch_pcr_shared_kernelILj256E21rocsparse_complex_numIfEEEviiiPKT0_S5_S5_PS3_,@function
_ZN9rocsparseL44gtsv_nopivot_strided_batch_pcr_shared_kernelILj256E21rocsparse_complex_numIfEEEviiiPKT0_S5_S5_PS3_: ; @_ZN9rocsparseL44gtsv_nopivot_strided_batch_pcr_shared_kernelILj256E21rocsparse_complex_numIfEEEviiiPKT0_S5_S5_PS3_
; %bb.0:
	s_load_dword s0, s[4:5], 0x8
	s_load_dword s8, s[4:5], 0x0
	v_mov_b32_e32 v4, 0
	v_mov_b32_e32 v6, 0
	;; [unrolled: 1-line block ×3, first 2 shown]
	s_waitcnt lgkmcnt(0)
	s_mul_i32 s6, s6, s0
	v_add_u32_e32 v2, s6, v0
	v_cmp_gt_i32_e64 s[0:1], s8, v0
	v_ashrrev_i32_e32 v3, 31, v2
	s_and_saveexec_b64 s[2:3], s[0:1]
	s_cbranch_execz .LBB57_2
; %bb.1:
	s_load_dwordx2 s[6:7], s[4:5], 0x10
	v_lshlrev_b64 v[6:7], 3, v[2:3]
	s_waitcnt lgkmcnt(0)
	v_mov_b32_e32 v1, s7
	v_add_co_u32_e32 v6, vcc, s6, v6
	v_addc_co_u32_e32 v7, vcc, v1, v7, vcc
	global_load_dwordx2 v[6:7], v[6:7], off
.LBB57_2:
	s_or_b64 exec, exec, s[2:3]
	v_lshlrev_b32_e32 v1, 3, v0
	v_mov_b32_e32 v5, 0
	s_waitcnt vmcnt(0)
	ds_write_b64 v1, v[6:7]
	s_and_saveexec_b64 s[2:3], s[0:1]
	s_cbranch_execz .LBB57_4
; %bb.3:
	s_load_dwordx2 s[6:7], s[4:5], 0x18
	v_lshlrev_b64 v[4:5], 3, v[2:3]
	s_waitcnt lgkmcnt(0)
	v_mov_b32_e32 v6, s7
	v_add_co_u32_e32 v4, vcc, s6, v4
	v_addc_co_u32_e32 v5, vcc, v6, v5, vcc
	global_load_dwordx2 v[4:5], v[4:5], off
.LBB57_4:
	s_or_b64 exec, exec, s[2:3]
	s_load_dwordx2 s[2:3], s[4:5], 0x28
	s_waitcnt vmcnt(0)
	ds_write_b64 v1, v[4:5] offset:2048
	v_mov_b32_e32 v4, 0
	v_mov_b32_e32 v6, 0
	;; [unrolled: 1-line block ×3, first 2 shown]
	s_and_saveexec_b64 s[6:7], s[0:1]
	s_cbranch_execz .LBB57_6
; %bb.5:
	s_load_dwordx2 s[4:5], s[4:5], 0x20
	v_lshlrev_b64 v[6:7], 3, v[2:3]
	s_waitcnt lgkmcnt(0)
	v_mov_b32_e32 v5, s5
	v_add_co_u32_e32 v6, vcc, s4, v6
	v_addc_co_u32_e32 v7, vcc, v5, v7, vcc
	global_load_dwordx2 v[6:7], v[6:7], off
.LBB57_6:
	s_or_b64 exec, exec, s[6:7]
	v_or_b32_e32 v8, 0x800, v1
	v_or_b32_e32 v9, 0x1000, v1
	v_mov_b32_e32 v5, 0
	s_waitcnt vmcnt(0)
	ds_write_b64 v1, v[6:7] offset:4096
	s_and_saveexec_b64 s[4:5], s[0:1]
	s_cbranch_execz .LBB57_8
; %bb.7:
	v_lshlrev_b64 v[4:5], 3, v[2:3]
	s_waitcnt lgkmcnt(0)
	v_mov_b32_e32 v6, s3
	v_add_co_u32_e32 v4, vcc, s2, v4
	v_addc_co_u32_e32 v5, vcc, v6, v5, vcc
	global_load_dwordx2 v[4:5], v[4:5], off
.LBB57_8:
	s_or_b64 exec, exec, s[4:5]
	s_waitcnt vmcnt(0)
	ds_write_b64 v1, v[4:5] offset:8192
	v_max_i32_e32 v4, 1, v0
	v_lshlrev_b32_e32 v5, 3, v4
	v_add_u32_e32 v4, 0x1f8, v5
	s_waitcnt lgkmcnt(0)
	s_barrier
	ds_read2st64_b64 v[10:13], v4 offset0:3 offset1:7
	s_add_i32 s4, s8, -1
	v_mov_b32_e32 v4, s4
	v_add_u32_e32 v6, 1, v0
	v_cmp_gt_i32_e32 vcc, s8, v6
	s_waitcnt lgkmcnt(0)
	v_mul_f32_e32 v14, v11, v11
	v_fmac_f32_e32 v14, v10, v10
	v_div_scale_f32 v15, s[4:5], v14, v14, 1.0
	v_rcp_f32_e32 v16, v15
	v_cndmask_b32_e32 v17, v4, v6, vcc
	ds_read_b64 v[6:7], v1
	v_lshlrev_b32_e32 v27, 3, v17
	v_fma_f32 v19, -v15, v16, 1.0
	v_fmac_f32_e32 v16, v19, v16
	v_div_scale_f32 v19, vcc, 1.0, v14, 1.0
	v_mul_f32_e32 v20, v19, v16
	v_fma_f32 v21, -v15, v20, v19
	v_fmac_f32_e32 v20, v21, v16
	v_fma_f32 v15, -v15, v20, v19
	v_div_fmas_f32 v15, v15, v16, v20
	v_add_u32_e32 v18, -8, v5
	v_div_fixup_f32 v19, v15, v14, 1.0
	ds_read2st64_b64 v[14:17], v27 offset1:4
	ds_read_b64 v[20:21], v18
	ds_read_b64 v[22:23], v5 offset:8184
	ds_read_b64 v[24:25], v1 offset:8192
	s_waitcnt lgkmcnt(4)
	v_mul_f32_e32 v5, v11, v7
	v_fmac_f32_e32 v5, v6, v10
	v_mul_f32_e32 v26, v19, v5
	s_waitcnt lgkmcnt(3)
	v_mul_f32_e32 v5, v17, v17
	v_fmac_f32_e32 v5, v16, v16
	v_div_scale_f32 v18, s[4:5], v5, v5, 1.0
	v_rcp_f32_e32 v28, v18
	v_mul_f32_e64 v6, v11, -v6
	v_fmac_f32_e32 v6, v7, v10
	v_mul_f32_e32 v6, v6, v19
	v_fma_f32 v7, -v18, v28, 1.0
	v_fmac_f32_e32 v28, v7, v28
	v_div_scale_f32 v7, vcc, 1.0, v5, 1.0
	v_mul_f32_e32 v19, v7, v28
	v_fma_f32 v10, -v18, v19, v7
	v_fmac_f32_e32 v19, v10, v28
	ds_read_b64 v[10:11], v9
	v_fma_f32 v7, -v18, v19, v7
	v_div_fmas_f32 v7, v7, v28, v19
	ds_read_b64 v[28:29], v8
	v_div_fixup_f32 v5, v7, v5, 1.0
	s_waitcnt lgkmcnt(1)
	v_mul_f32_e32 v7, v17, v11
	v_fmac_f32_e32 v7, v10, v16
	v_mul_f32_e32 v30, v5, v7
	v_mul_f32_e64 v7, v17, -v10
	v_fmac_f32_e32 v7, v11, v16
	ds_read2st64_b64 v[16:19], v27 offset0:8 offset1:16
	v_pk_mul_f32 v[32:33], v[6:7], v[12:13] op_sel:[0,1] op_sel_hi:[0,0] neg_lo:[0,1]
	v_mul_f32_e32 v10, v7, v5
	v_pk_fma_f32 v[12:13], v[12:13], v[26:27], v[32:33] op_sel_hi:[1,0,1]
	s_waitcnt lgkmcnt(1)
	v_pk_add_f32 v[12:13], v[28:29], v[12:13] neg_lo:[0,1] neg_hi:[0,1]
	v_pk_mul_f32 v[28:29], v[10:11], v[14:15] op_sel:[0,1] op_sel_hi:[0,0] neg_lo:[0,1]
	v_pk_fma_f32 v[14:15], v[14:15], v[30:31], v[28:29] op_sel_hi:[1,0,1]
	v_pk_add_f32 v[12:13], v[12:13], v[14:15] neg_lo:[0,1] neg_hi:[0,1]
	v_pk_mul_f32 v[14:15], v[6:7], v[22:23] op_sel:[0,1] op_sel_hi:[0,0] neg_lo:[0,1]
	v_pk_fma_f32 v[14:15], v[22:23], v[26:27], v[14:15] op_sel_hi:[1,0,1]
	s_waitcnt lgkmcnt(0)
	v_pk_mul_f32 v[22:23], v[10:11], v[18:19] op_sel:[0,1] op_sel_hi:[0,0] neg_lo:[0,1]
	v_pk_mul_f32 v[6:7], v[6:7], v[20:21] op_sel:[0,1] op_sel_hi:[0,0] neg_hi:[0,1]
	v_max_i32_e32 v5, 2, v0
	v_pk_add_f32 v[14:15], v[24:25], v[14:15] neg_lo:[0,1] neg_hi:[0,1]
	v_pk_fma_f32 v[18:19], v[18:19], v[30:31], v[22:23] op_sel_hi:[1,0,1]
	v_pk_fma_f32 v[6:7], v[20:21], v[26:27], v[6:7] op_sel_hi:[1,0,1] neg_lo:[1,0,0] neg_hi:[1,0,0]
	v_pk_mul_f32 v[10:11], v[10:11], v[16:17] op_sel:[0,1] op_sel_hi:[0,0] neg_hi:[0,1]
	v_lshlrev_b32_e32 v5, 3, v5
	v_pk_add_f32 v[14:15], v[14:15], v[18:19] neg_lo:[0,1] neg_hi:[0,1]
	v_pk_fma_f32 v[10:11], v[16:17], v[30:31], v[10:11] op_sel_hi:[1,0,1] neg_lo:[1,0,0] neg_hi:[1,0,0]
	s_barrier
	ds_write_b64 v8, v[12:13]
	ds_write_b64 v1, v[14:15] offset:8192
	ds_write_b64 v1, v[6:7]
	ds_write_b64 v9, v[10:11]
	v_add_u32_e32 v6, 0x1f0, v5
	s_waitcnt lgkmcnt(0)
	s_barrier
	ds_read2st64_b64 v[10:13], v6 offset0:3 offset1:7
	v_add_u32_e32 v6, 2, v0
	v_cmp_gt_i32_e32 vcc, s8, v6
	v_cndmask_b32_e32 v17, v4, v6, vcc
	ds_read_b64 v[6:7], v1
	s_waitcnt lgkmcnt(1)
	v_mul_f32_e32 v14, v11, v11
	v_fmac_f32_e32 v14, v10, v10
	v_div_scale_f32 v15, s[4:5], v14, v14, 1.0
	v_rcp_f32_e32 v16, v15
	v_lshlrev_b32_e32 v27, 3, v17
	v_add_u32_e32 v18, -16, v5
	v_fma_f32 v19, -v15, v16, 1.0
	v_fmac_f32_e32 v16, v19, v16
	v_div_scale_f32 v19, vcc, 1.0, v14, 1.0
	v_mul_f32_e32 v20, v19, v16
	v_fma_f32 v21, -v15, v20, v19
	v_fmac_f32_e32 v20, v21, v16
	v_fma_f32 v15, -v15, v20, v19
	v_div_fmas_f32 v15, v15, v16, v20
	v_div_fixup_f32 v19, v15, v14, 1.0
	ds_read2st64_b64 v[14:17], v27 offset1:4
	ds_read_b64 v[20:21], v18
	ds_read_b64 v[22:23], v5 offset:8176
	ds_read_b64 v[24:25], v1 offset:8192
	s_waitcnt lgkmcnt(4)
	v_mul_f32_e32 v5, v11, v7
	v_fmac_f32_e32 v5, v6, v10
	v_mul_f32_e32 v26, v19, v5
	s_waitcnt lgkmcnt(3)
	v_mul_f32_e32 v5, v17, v17
	v_fmac_f32_e32 v5, v16, v16
	v_div_scale_f32 v18, s[4:5], v5, v5, 1.0
	v_rcp_f32_e32 v28, v18
	v_mul_f32_e64 v6, v11, -v6
	v_fmac_f32_e32 v6, v7, v10
	v_mul_f32_e32 v6, v6, v19
	v_fma_f32 v7, -v18, v28, 1.0
	v_fmac_f32_e32 v28, v7, v28
	v_div_scale_f32 v7, vcc, 1.0, v5, 1.0
	v_mul_f32_e32 v19, v7, v28
	v_fma_f32 v10, -v18, v19, v7
	v_fmac_f32_e32 v19, v10, v28
	ds_read_b64 v[10:11], v9
	v_fma_f32 v7, -v18, v19, v7
	v_div_fmas_f32 v7, v7, v28, v19
	ds_read_b64 v[28:29], v8
	v_div_fixup_f32 v5, v7, v5, 1.0
	s_waitcnt lgkmcnt(1)
	v_mul_f32_e32 v7, v17, v11
	v_fmac_f32_e32 v7, v10, v16
	v_mul_f32_e32 v30, v5, v7
	v_mul_f32_e64 v7, v17, -v10
	v_fmac_f32_e32 v7, v11, v16
	ds_read2st64_b64 v[16:19], v27 offset0:8 offset1:16
	v_pk_mul_f32 v[32:33], v[6:7], v[12:13] op_sel:[0,1] op_sel_hi:[0,0] neg_lo:[0,1]
	v_mul_f32_e32 v10, v7, v5
	v_pk_fma_f32 v[12:13], v[12:13], v[26:27], v[32:33] op_sel_hi:[1,0,1]
	s_waitcnt lgkmcnt(1)
	v_pk_add_f32 v[12:13], v[28:29], v[12:13] neg_lo:[0,1] neg_hi:[0,1]
	v_pk_mul_f32 v[28:29], v[10:11], v[14:15] op_sel:[0,1] op_sel_hi:[0,0] neg_lo:[0,1]
	v_pk_fma_f32 v[14:15], v[14:15], v[30:31], v[28:29] op_sel_hi:[1,0,1]
	v_pk_add_f32 v[12:13], v[12:13], v[14:15] neg_lo:[0,1] neg_hi:[0,1]
	v_pk_mul_f32 v[14:15], v[6:7], v[22:23] op_sel:[0,1] op_sel_hi:[0,0] neg_lo:[0,1]
	v_pk_fma_f32 v[14:15], v[22:23], v[26:27], v[14:15] op_sel_hi:[1,0,1]
	s_waitcnt lgkmcnt(0)
	v_pk_mul_f32 v[22:23], v[10:11], v[18:19] op_sel:[0,1] op_sel_hi:[0,0] neg_lo:[0,1]
	v_pk_mul_f32 v[6:7], v[6:7], v[20:21] op_sel:[0,1] op_sel_hi:[0,0] neg_hi:[0,1]
	v_max_i32_e32 v5, 4, v0
	v_pk_add_f32 v[14:15], v[24:25], v[14:15] neg_lo:[0,1] neg_hi:[0,1]
	v_pk_fma_f32 v[18:19], v[18:19], v[30:31], v[22:23] op_sel_hi:[1,0,1]
	v_pk_fma_f32 v[6:7], v[20:21], v[26:27], v[6:7] op_sel_hi:[1,0,1] neg_lo:[1,0,0] neg_hi:[1,0,0]
	v_pk_mul_f32 v[10:11], v[10:11], v[16:17] op_sel:[0,1] op_sel_hi:[0,0] neg_hi:[0,1]
	v_lshlrev_b32_e32 v5, 3, v5
	v_pk_add_f32 v[14:15], v[14:15], v[18:19] neg_lo:[0,1] neg_hi:[0,1]
	v_pk_fma_f32 v[10:11], v[16:17], v[30:31], v[10:11] op_sel_hi:[1,0,1] neg_lo:[1,0,0] neg_hi:[1,0,0]
	s_barrier
	ds_write_b64 v8, v[12:13]
	ds_write_b64 v1, v[14:15] offset:8192
	ds_write_b64 v1, v[6:7]
	ds_write_b64 v9, v[10:11]
	v_add_u32_e32 v6, 0x1e0, v5
	s_waitcnt lgkmcnt(0)
	s_barrier
	ds_read2st64_b64 v[10:13], v6 offset0:3 offset1:7
	v_add_u32_e32 v6, 4, v0
	v_cmp_gt_i32_e32 vcc, s8, v6
	v_cndmask_b32_e32 v17, v4, v6, vcc
	ds_read_b64 v[6:7], v1
	s_waitcnt lgkmcnt(1)
	v_mul_f32_e32 v14, v11, v11
	v_fmac_f32_e32 v14, v10, v10
	v_div_scale_f32 v15, s[4:5], v14, v14, 1.0
	v_rcp_f32_e32 v16, v15
	v_lshlrev_b32_e32 v27, 3, v17
	v_subrev_u32_e32 v18, 32, v5
	v_fma_f32 v19, -v15, v16, 1.0
	v_fmac_f32_e32 v16, v19, v16
	v_div_scale_f32 v19, vcc, 1.0, v14, 1.0
	v_mul_f32_e32 v20, v19, v16
	v_fma_f32 v21, -v15, v20, v19
	v_fmac_f32_e32 v20, v21, v16
	v_fma_f32 v15, -v15, v20, v19
	v_div_fmas_f32 v15, v15, v16, v20
	v_div_fixup_f32 v19, v15, v14, 1.0
	ds_read2st64_b64 v[14:17], v27 offset1:4
	ds_read_b64 v[20:21], v18
	ds_read_b64 v[22:23], v5 offset:8160
	ds_read_b64 v[24:25], v1 offset:8192
	s_waitcnt lgkmcnt(4)
	v_mul_f32_e32 v5, v11, v7
	v_fmac_f32_e32 v5, v6, v10
	v_mul_f32_e32 v26, v19, v5
	s_waitcnt lgkmcnt(3)
	v_mul_f32_e32 v5, v17, v17
	v_fmac_f32_e32 v5, v16, v16
	v_div_scale_f32 v18, s[4:5], v5, v5, 1.0
	v_rcp_f32_e32 v28, v18
	v_mul_f32_e64 v6, v11, -v6
	v_fmac_f32_e32 v6, v7, v10
	v_mul_f32_e32 v6, v6, v19
	v_fma_f32 v7, -v18, v28, 1.0
	v_fmac_f32_e32 v28, v7, v28
	v_div_scale_f32 v7, vcc, 1.0, v5, 1.0
	v_mul_f32_e32 v19, v7, v28
	v_fma_f32 v10, -v18, v19, v7
	v_fmac_f32_e32 v19, v10, v28
	ds_read_b64 v[10:11], v9
	v_fma_f32 v7, -v18, v19, v7
	v_div_fmas_f32 v7, v7, v28, v19
	ds_read_b64 v[28:29], v8
	v_div_fixup_f32 v5, v7, v5, 1.0
	s_waitcnt lgkmcnt(1)
	v_mul_f32_e32 v7, v17, v11
	v_fmac_f32_e32 v7, v10, v16
	v_mul_f32_e32 v30, v5, v7
	v_mul_f32_e64 v7, v17, -v10
	v_fmac_f32_e32 v7, v11, v16
	ds_read2st64_b64 v[16:19], v27 offset0:8 offset1:16
	v_pk_mul_f32 v[32:33], v[6:7], v[12:13] op_sel:[0,1] op_sel_hi:[0,0] neg_lo:[0,1]
	v_mul_f32_e32 v10, v7, v5
	v_pk_fma_f32 v[12:13], v[12:13], v[26:27], v[32:33] op_sel_hi:[1,0,1]
	s_waitcnt lgkmcnt(1)
	v_pk_add_f32 v[12:13], v[28:29], v[12:13] neg_lo:[0,1] neg_hi:[0,1]
	v_pk_mul_f32 v[28:29], v[10:11], v[14:15] op_sel:[0,1] op_sel_hi:[0,0] neg_lo:[0,1]
	v_pk_fma_f32 v[14:15], v[14:15], v[30:31], v[28:29] op_sel_hi:[1,0,1]
	v_pk_add_f32 v[12:13], v[12:13], v[14:15] neg_lo:[0,1] neg_hi:[0,1]
	v_pk_mul_f32 v[14:15], v[6:7], v[22:23] op_sel:[0,1] op_sel_hi:[0,0] neg_lo:[0,1]
	v_pk_fma_f32 v[14:15], v[22:23], v[26:27], v[14:15] op_sel_hi:[1,0,1]
	s_waitcnt lgkmcnt(0)
	v_pk_mul_f32 v[22:23], v[10:11], v[18:19] op_sel:[0,1] op_sel_hi:[0,0] neg_lo:[0,1]
	v_pk_mul_f32 v[6:7], v[6:7], v[20:21] op_sel:[0,1] op_sel_hi:[0,0] neg_hi:[0,1]
	v_max_i32_e32 v5, 8, v0
	v_pk_add_f32 v[14:15], v[24:25], v[14:15] neg_lo:[0,1] neg_hi:[0,1]
	v_pk_fma_f32 v[18:19], v[18:19], v[30:31], v[22:23] op_sel_hi:[1,0,1]
	v_pk_fma_f32 v[6:7], v[20:21], v[26:27], v[6:7] op_sel_hi:[1,0,1] neg_lo:[1,0,0] neg_hi:[1,0,0]
	v_pk_mul_f32 v[10:11], v[10:11], v[16:17] op_sel:[0,1] op_sel_hi:[0,0] neg_hi:[0,1]
	v_lshlrev_b32_e32 v5, 3, v5
	v_pk_add_f32 v[14:15], v[14:15], v[18:19] neg_lo:[0,1] neg_hi:[0,1]
	v_pk_fma_f32 v[10:11], v[16:17], v[30:31], v[10:11] op_sel_hi:[1,0,1] neg_lo:[1,0,0] neg_hi:[1,0,0]
	s_barrier
	ds_write_b64 v8, v[12:13]
	ds_write_b64 v1, v[14:15] offset:8192
	ds_write_b64 v1, v[6:7]
	ds_write_b64 v9, v[10:11]
	v_add_u32_e32 v6, 0x1c0, v5
	s_waitcnt lgkmcnt(0)
	s_barrier
	ds_read2st64_b64 v[10:13], v6 offset0:3 offset1:7
	v_add_u32_e32 v6, 8, v0
	v_cmp_gt_i32_e32 vcc, s8, v6
	v_cndmask_b32_e32 v17, v4, v6, vcc
	ds_read_b64 v[6:7], v1
	s_waitcnt lgkmcnt(1)
	v_mul_f32_e32 v14, v11, v11
	v_fmac_f32_e32 v14, v10, v10
	v_div_scale_f32 v15, s[4:5], v14, v14, 1.0
	v_rcp_f32_e32 v16, v15
	v_lshlrev_b32_e32 v27, 3, v17
	v_subrev_u32_e32 v18, 64, v5
	v_fma_f32 v19, -v15, v16, 1.0
	v_fmac_f32_e32 v16, v19, v16
	v_div_scale_f32 v19, vcc, 1.0, v14, 1.0
	v_mul_f32_e32 v20, v19, v16
	v_fma_f32 v21, -v15, v20, v19
	v_fmac_f32_e32 v20, v21, v16
	v_fma_f32 v15, -v15, v20, v19
	v_div_fmas_f32 v15, v15, v16, v20
	v_div_fixup_f32 v19, v15, v14, 1.0
	ds_read2st64_b64 v[14:17], v27 offset1:4
	ds_read_b64 v[20:21], v18
	ds_read_b64 v[22:23], v5 offset:8128
	ds_read_b64 v[24:25], v1 offset:8192
	s_waitcnt lgkmcnt(4)
	v_mul_f32_e32 v5, v11, v7
	v_fmac_f32_e32 v5, v6, v10
	v_mul_f32_e32 v26, v19, v5
	s_waitcnt lgkmcnt(3)
	v_mul_f32_e32 v5, v17, v17
	v_fmac_f32_e32 v5, v16, v16
	v_div_scale_f32 v18, s[4:5], v5, v5, 1.0
	v_rcp_f32_e32 v28, v18
	v_mul_f32_e64 v6, v11, -v6
	v_fmac_f32_e32 v6, v7, v10
	v_mul_f32_e32 v6, v6, v19
	v_fma_f32 v7, -v18, v28, 1.0
	v_fmac_f32_e32 v28, v7, v28
	v_div_scale_f32 v7, vcc, 1.0, v5, 1.0
	v_mul_f32_e32 v19, v7, v28
	v_fma_f32 v10, -v18, v19, v7
	v_fmac_f32_e32 v19, v10, v28
	ds_read_b64 v[10:11], v9
	v_fma_f32 v7, -v18, v19, v7
	v_div_fmas_f32 v7, v7, v28, v19
	ds_read_b64 v[28:29], v8
	v_div_fixup_f32 v5, v7, v5, 1.0
	s_waitcnt lgkmcnt(1)
	v_mul_f32_e32 v7, v17, v11
	v_fmac_f32_e32 v7, v10, v16
	v_mul_f32_e32 v30, v5, v7
	v_mul_f32_e64 v7, v17, -v10
	v_fmac_f32_e32 v7, v11, v16
	ds_read2st64_b64 v[16:19], v27 offset0:8 offset1:16
	v_pk_mul_f32 v[32:33], v[6:7], v[12:13] op_sel:[0,1] op_sel_hi:[0,0] neg_lo:[0,1]
	v_mul_f32_e32 v10, v7, v5
	v_pk_fma_f32 v[12:13], v[12:13], v[26:27], v[32:33] op_sel_hi:[1,0,1]
	s_waitcnt lgkmcnt(1)
	v_pk_add_f32 v[12:13], v[28:29], v[12:13] neg_lo:[0,1] neg_hi:[0,1]
	v_pk_mul_f32 v[28:29], v[10:11], v[14:15] op_sel:[0,1] op_sel_hi:[0,0] neg_lo:[0,1]
	v_pk_fma_f32 v[14:15], v[14:15], v[30:31], v[28:29] op_sel_hi:[1,0,1]
	v_pk_add_f32 v[12:13], v[12:13], v[14:15] neg_lo:[0,1] neg_hi:[0,1]
	v_pk_mul_f32 v[14:15], v[6:7], v[22:23] op_sel:[0,1] op_sel_hi:[0,0] neg_lo:[0,1]
	v_pk_fma_f32 v[14:15], v[22:23], v[26:27], v[14:15] op_sel_hi:[1,0,1]
	s_waitcnt lgkmcnt(0)
	v_pk_mul_f32 v[22:23], v[10:11], v[18:19] op_sel:[0,1] op_sel_hi:[0,0] neg_lo:[0,1]
	v_pk_mul_f32 v[6:7], v[6:7], v[20:21] op_sel:[0,1] op_sel_hi:[0,0] neg_hi:[0,1]
	v_max_i32_e32 v5, 16, v0
	v_pk_add_f32 v[14:15], v[24:25], v[14:15] neg_lo:[0,1] neg_hi:[0,1]
	v_pk_fma_f32 v[18:19], v[18:19], v[30:31], v[22:23] op_sel_hi:[1,0,1]
	v_pk_fma_f32 v[6:7], v[20:21], v[26:27], v[6:7] op_sel_hi:[1,0,1] neg_lo:[1,0,0] neg_hi:[1,0,0]
	v_pk_mul_f32 v[10:11], v[10:11], v[16:17] op_sel:[0,1] op_sel_hi:[0,0] neg_hi:[0,1]
	v_lshlrev_b32_e32 v5, 3, v5
	v_pk_add_f32 v[14:15], v[14:15], v[18:19] neg_lo:[0,1] neg_hi:[0,1]
	v_pk_fma_f32 v[10:11], v[16:17], v[30:31], v[10:11] op_sel_hi:[1,0,1] neg_lo:[1,0,0] neg_hi:[1,0,0]
	s_barrier
	ds_write_b64 v8, v[12:13]
	ds_write_b64 v1, v[14:15] offset:8192
	ds_write_b64 v1, v[6:7]
	ds_write_b64 v9, v[10:11]
	v_add_u32_e32 v6, 0x180, v5
	s_waitcnt lgkmcnt(0)
	s_barrier
	ds_read2st64_b64 v[10:13], v6 offset0:3 offset1:7
	v_add_u32_e32 v6, 16, v0
	v_cmp_gt_i32_e32 vcc, s8, v6
	v_cndmask_b32_e32 v17, v4, v6, vcc
	ds_read_b64 v[6:7], v1
	s_waitcnt lgkmcnt(1)
	v_mul_f32_e32 v14, v11, v11
	v_fmac_f32_e32 v14, v10, v10
	v_div_scale_f32 v15, s[4:5], v14, v14, 1.0
	v_rcp_f32_e32 v16, v15
	v_lshlrev_b32_e32 v27, 3, v17
	v_add_u32_e32 v18, 0xffffff80, v5
	v_fma_f32 v19, -v15, v16, 1.0
	v_fmac_f32_e32 v16, v19, v16
	v_div_scale_f32 v19, vcc, 1.0, v14, 1.0
	v_mul_f32_e32 v20, v19, v16
	v_fma_f32 v21, -v15, v20, v19
	v_fmac_f32_e32 v20, v21, v16
	v_fma_f32 v15, -v15, v20, v19
	v_div_fmas_f32 v15, v15, v16, v20
	v_div_fixup_f32 v19, v15, v14, 1.0
	ds_read2st64_b64 v[14:17], v27 offset1:4
	ds_read_b64 v[20:21], v18
	ds_read_b64 v[22:23], v5 offset:8064
	ds_read_b64 v[24:25], v1 offset:8192
	s_waitcnt lgkmcnt(4)
	v_mul_f32_e32 v5, v11, v7
	v_fmac_f32_e32 v5, v6, v10
	v_mul_f32_e32 v26, v19, v5
	s_waitcnt lgkmcnt(3)
	v_mul_f32_e32 v5, v17, v17
	v_fmac_f32_e32 v5, v16, v16
	v_div_scale_f32 v18, s[4:5], v5, v5, 1.0
	v_rcp_f32_e32 v28, v18
	v_mul_f32_e64 v6, v11, -v6
	v_fmac_f32_e32 v6, v7, v10
	v_mul_f32_e32 v6, v6, v19
	v_fma_f32 v7, -v18, v28, 1.0
	v_fmac_f32_e32 v28, v7, v28
	v_div_scale_f32 v7, vcc, 1.0, v5, 1.0
	v_mul_f32_e32 v19, v7, v28
	v_fma_f32 v10, -v18, v19, v7
	v_fmac_f32_e32 v19, v10, v28
	ds_read_b64 v[10:11], v9
	v_fma_f32 v7, -v18, v19, v7
	v_div_fmas_f32 v7, v7, v28, v19
	ds_read_b64 v[28:29], v8
	v_div_fixup_f32 v5, v7, v5, 1.0
	s_waitcnt lgkmcnt(1)
	v_mul_f32_e32 v7, v17, v11
	v_fmac_f32_e32 v7, v10, v16
	v_mul_f32_e32 v30, v5, v7
	v_mul_f32_e64 v7, v17, -v10
	v_fmac_f32_e32 v7, v11, v16
	ds_read2st64_b64 v[16:19], v27 offset0:8 offset1:16
	v_pk_mul_f32 v[32:33], v[6:7], v[12:13] op_sel:[0,1] op_sel_hi:[0,0] neg_lo:[0,1]
	v_mul_f32_e32 v10, v7, v5
	v_pk_fma_f32 v[12:13], v[12:13], v[26:27], v[32:33] op_sel_hi:[1,0,1]
	s_waitcnt lgkmcnt(1)
	v_pk_add_f32 v[12:13], v[28:29], v[12:13] neg_lo:[0,1] neg_hi:[0,1]
	v_pk_mul_f32 v[28:29], v[10:11], v[14:15] op_sel:[0,1] op_sel_hi:[0,0] neg_lo:[0,1]
	v_pk_fma_f32 v[14:15], v[14:15], v[30:31], v[28:29] op_sel_hi:[1,0,1]
	v_pk_add_f32 v[12:13], v[12:13], v[14:15] neg_lo:[0,1] neg_hi:[0,1]
	v_pk_mul_f32 v[14:15], v[6:7], v[22:23] op_sel:[0,1] op_sel_hi:[0,0] neg_lo:[0,1]
	v_pk_fma_f32 v[14:15], v[22:23], v[26:27], v[14:15] op_sel_hi:[1,0,1]
	s_waitcnt lgkmcnt(0)
	v_pk_mul_f32 v[22:23], v[10:11], v[18:19] op_sel:[0,1] op_sel_hi:[0,0] neg_lo:[0,1]
	v_pk_mul_f32 v[6:7], v[6:7], v[20:21] op_sel:[0,1] op_sel_hi:[0,0] neg_hi:[0,1]
	v_max_i32_e32 v5, 32, v0
	v_pk_add_f32 v[14:15], v[24:25], v[14:15] neg_lo:[0,1] neg_hi:[0,1]
	v_pk_fma_f32 v[18:19], v[18:19], v[30:31], v[22:23] op_sel_hi:[1,0,1]
	v_pk_fma_f32 v[6:7], v[20:21], v[26:27], v[6:7] op_sel_hi:[1,0,1] neg_lo:[1,0,0] neg_hi:[1,0,0]
	v_pk_mul_f32 v[10:11], v[10:11], v[16:17] op_sel:[0,1] op_sel_hi:[0,0] neg_hi:[0,1]
	v_lshlrev_b32_e32 v5, 3, v5
	v_pk_add_f32 v[14:15], v[14:15], v[18:19] neg_lo:[0,1] neg_hi:[0,1]
	v_pk_fma_f32 v[10:11], v[16:17], v[30:31], v[10:11] op_sel_hi:[1,0,1] neg_lo:[1,0,0] neg_hi:[1,0,0]
	s_barrier
	ds_write_b64 v8, v[12:13]
	ds_write_b64 v1, v[14:15] offset:8192
	ds_write_b64 v1, v[6:7]
	ds_write_b64 v9, v[10:11]
	v_add_u32_e32 v6, 0x100, v5
	s_waitcnt lgkmcnt(0)
	s_barrier
	ds_read2st64_b64 v[10:13], v6 offset0:3 offset1:7
	v_add_u32_e32 v6, 32, v0
	v_cmp_gt_i32_e32 vcc, s8, v6
	v_cndmask_b32_e32 v17, v4, v6, vcc
	ds_read_b64 v[6:7], v1
	s_waitcnt lgkmcnt(1)
	v_mul_f32_e32 v14, v11, v11
	v_fmac_f32_e32 v14, v10, v10
	v_div_scale_f32 v15, s[4:5], v14, v14, 1.0
	v_rcp_f32_e32 v16, v15
	v_lshlrev_b32_e32 v27, 3, v17
	v_add_u32_e32 v18, 0xffffff00, v5
	v_fma_f32 v19, -v15, v16, 1.0
	v_fmac_f32_e32 v16, v19, v16
	v_div_scale_f32 v19, vcc, 1.0, v14, 1.0
	v_mul_f32_e32 v20, v19, v16
	v_fma_f32 v21, -v15, v20, v19
	v_fmac_f32_e32 v20, v21, v16
	v_fma_f32 v15, -v15, v20, v19
	v_div_fmas_f32 v15, v15, v16, v20
	v_div_fixup_f32 v19, v15, v14, 1.0
	ds_read2st64_b64 v[14:17], v27 offset1:4
	ds_read_b64 v[20:21], v18
	ds_read_b64 v[22:23], v5 offset:7936
	ds_read_b64 v[24:25], v1 offset:8192
	s_waitcnt lgkmcnt(4)
	v_mul_f32_e32 v5, v11, v7
	v_fmac_f32_e32 v5, v6, v10
	v_mul_f32_e32 v26, v19, v5
	s_waitcnt lgkmcnt(3)
	v_mul_f32_e32 v5, v17, v17
	v_fmac_f32_e32 v5, v16, v16
	v_div_scale_f32 v18, s[4:5], v5, v5, 1.0
	v_rcp_f32_e32 v28, v18
	v_mul_f32_e64 v6, v11, -v6
	v_fmac_f32_e32 v6, v7, v10
	v_mul_f32_e32 v6, v6, v19
	v_fma_f32 v7, -v18, v28, 1.0
	v_fmac_f32_e32 v28, v7, v28
	v_div_scale_f32 v7, vcc, 1.0, v5, 1.0
	v_mul_f32_e32 v19, v7, v28
	v_fma_f32 v10, -v18, v19, v7
	v_fmac_f32_e32 v19, v10, v28
	ds_read_b64 v[10:11], v9
	v_fma_f32 v7, -v18, v19, v7
	v_div_fmas_f32 v7, v7, v28, v19
	ds_read_b64 v[28:29], v8
	v_div_fixup_f32 v5, v7, v5, 1.0
	s_waitcnt lgkmcnt(1)
	v_mul_f32_e32 v7, v17, v11
	v_fmac_f32_e32 v7, v10, v16
	v_mul_f32_e32 v30, v5, v7
	v_mul_f32_e64 v7, v17, -v10
	v_fmac_f32_e32 v7, v11, v16
	ds_read2st64_b64 v[16:19], v27 offset0:8 offset1:16
	v_pk_mul_f32 v[32:33], v[6:7], v[12:13] op_sel:[0,1] op_sel_hi:[0,0] neg_lo:[0,1]
	v_mul_f32_e32 v10, v7, v5
	v_pk_fma_f32 v[12:13], v[12:13], v[26:27], v[32:33] op_sel_hi:[1,0,1]
	s_waitcnt lgkmcnt(1)
	v_pk_add_f32 v[12:13], v[28:29], v[12:13] neg_lo:[0,1] neg_hi:[0,1]
	v_pk_mul_f32 v[28:29], v[10:11], v[14:15] op_sel:[0,1] op_sel_hi:[0,0] neg_lo:[0,1]
	v_pk_fma_f32 v[14:15], v[14:15], v[30:31], v[28:29] op_sel_hi:[1,0,1]
	v_pk_add_f32 v[12:13], v[12:13], v[14:15] neg_lo:[0,1] neg_hi:[0,1]
	v_pk_mul_f32 v[14:15], v[6:7], v[22:23] op_sel:[0,1] op_sel_hi:[0,0] neg_lo:[0,1]
	v_pk_fma_f32 v[14:15], v[22:23], v[26:27], v[14:15] op_sel_hi:[1,0,1]
	s_waitcnt lgkmcnt(0)
	v_pk_mul_f32 v[22:23], v[10:11], v[18:19] op_sel:[0,1] op_sel_hi:[0,0] neg_lo:[0,1]
	v_pk_mul_f32 v[10:11], v[10:11], v[16:17] op_sel:[0,1] op_sel_hi:[0,0] neg_hi:[0,1]
	v_max_i32_e32 v5, 64, v0
	v_pk_add_f32 v[14:15], v[24:25], v[14:15] neg_lo:[0,1] neg_hi:[0,1]
	v_pk_fma_f32 v[18:19], v[18:19], v[30:31], v[22:23] op_sel_hi:[1,0,1]
	v_pk_mul_f32 v[6:7], v[6:7], v[20:21] op_sel:[0,1] op_sel_hi:[0,0] neg_hi:[0,1]
	v_pk_fma_f32 v[10:11], v[16:17], v[30:31], v[10:11] op_sel_hi:[1,0,1] neg_lo:[1,0,0] neg_hi:[1,0,0]
	v_lshlrev_b32_e32 v16, 3, v5
	v_pk_add_f32 v[14:15], v[14:15], v[18:19] neg_lo:[0,1] neg_hi:[0,1]
	v_pk_fma_f32 v[6:7], v[20:21], v[26:27], v[6:7] op_sel_hi:[1,0,1] neg_lo:[1,0,0] neg_hi:[1,0,0]
	s_barrier
	ds_write_b64 v8, v[12:13]
	ds_write_b64 v1, v[14:15] offset:8192
	ds_write_b64 v1, v[6:7]
	ds_write_b64 v9, v[10:11]
	s_waitcnt lgkmcnt(0)
	s_barrier
	ds_read2st64_b64 v[10:13], v16 offset0:3 offset1:7
	v_add_u32_e32 v5, 64, v0
	v_cmp_gt_i32_e32 vcc, s8, v5
	v_cndmask_b32_e32 v4, v4, v5, vcc
	ds_read_b64 v[14:15], v1
	s_waitcnt lgkmcnt(1)
	v_mul_f32_e32 v6, v11, v11
	v_fmac_f32_e32 v6, v10, v10
	v_div_scale_f32 v7, s[4:5], v6, v6, 1.0
	v_rcp_f32_e32 v17, v7
	v_add_u32_e32 v18, 0xfffffe00, v16
	v_lshlrev_b32_e32 v25, 3, v4
	v_fma_f32 v5, -v7, v17, 1.0
	v_fmac_f32_e32 v17, v5, v17
	v_div_scale_f32 v5, vcc, 1.0, v6, 1.0
	v_mul_f32_e32 v19, v5, v17
	v_fma_f32 v20, -v7, v19, v5
	v_fmac_f32_e32 v19, v20, v17
	v_fma_f32 v5, -v7, v19, v5
	v_div_fmas_f32 v5, v5, v17, v19
	v_div_fixup_f32 v17, v5, v6, 1.0
	ds_read2st64_b64 v[4:7], v25 offset1:4
	ds_read_b64 v[18:19], v18
	ds_read_b64 v[20:21], v16 offset:7680
	ds_read_b64 v[22:23], v1 offset:8192
	s_waitcnt lgkmcnt(4)
	v_mul_f32_e32 v16, v11, v15
	v_fmac_f32_e32 v16, v14, v10
	v_mul_f32_e32 v24, v17, v16
	s_waitcnt lgkmcnt(3)
	v_mul_f32_e32 v16, v7, v7
	v_fmac_f32_e32 v16, v6, v6
	v_div_scale_f32 v26, s[4:5], v16, v16, 1.0
	v_rcp_f32_e32 v27, v26
	v_mul_f32_e64 v11, v11, -v14
	v_fmac_f32_e32 v11, v15, v10
	v_mul_f32_e32 v10, v11, v17
	v_fma_f32 v11, -v26, v27, 1.0
	v_fmac_f32_e32 v27, v11, v27
	v_div_scale_f32 v11, vcc, 1.0, v16, 1.0
	v_mul_f32_e32 v17, v11, v27
	v_fma_f32 v14, -v26, v17, v11
	v_fmac_f32_e32 v17, v14, v27
	ds_read_b64 v[14:15], v9
	v_fma_f32 v11, -v26, v17, v11
	v_div_fmas_f32 v11, v11, v27, v17
	ds_read_b64 v[26:27], v8
	v_div_fixup_f32 v11, v11, v16, 1.0
	s_waitcnt lgkmcnt(1)
	v_mul_f32_e32 v16, v7, v15
	v_fmac_f32_e32 v16, v14, v6
	v_mul_f32_e64 v7, v7, -v14
	v_mul_f32_e32 v28, v11, v16
	v_fmac_f32_e32 v7, v15, v6
	ds_read2st64_b64 v[14:17], v25 offset0:8 offset1:16
	v_pk_mul_f32 v[30:31], v[10:11], v[12:13] op_sel:[0,1] op_sel_hi:[0,0] neg_lo:[0,1]
	v_mul_f32_e32 v6, v7, v11
	v_pk_fma_f32 v[12:13], v[12:13], v[24:25], v[30:31] op_sel_hi:[1,0,1]
	s_waitcnt lgkmcnt(1)
	v_pk_add_f32 v[12:13], v[26:27], v[12:13] neg_lo:[0,1] neg_hi:[0,1]
	v_pk_mul_f32 v[26:27], v[6:7], v[4:5] op_sel:[0,1] op_sel_hi:[0,0] neg_lo:[0,1]
	v_pk_fma_f32 v[4:5], v[4:5], v[28:29], v[26:27] op_sel_hi:[1,0,1]
	v_pk_add_f32 v[4:5], v[12:13], v[4:5] neg_lo:[0,1] neg_hi:[0,1]
	v_pk_mul_f32 v[12:13], v[10:11], v[20:21] op_sel:[0,1] op_sel_hi:[0,0] neg_lo:[0,1]
	v_pk_fma_f32 v[12:13], v[20:21], v[24:25], v[12:13] op_sel_hi:[1,0,1]
	s_waitcnt lgkmcnt(0)
	v_pk_mul_f32 v[20:21], v[6:7], v[16:17] op_sel:[0,1] op_sel_hi:[0,0] neg_lo:[0,1]
	s_movk_i32 s4, 0x80
	v_pk_add_f32 v[12:13], v[22:23], v[12:13] neg_lo:[0,1] neg_hi:[0,1]
	v_pk_fma_f32 v[16:17], v[16:17], v[28:29], v[20:21] op_sel_hi:[1,0,1]
	v_pk_mul_f32 v[10:11], v[10:11], v[18:19] op_sel:[0,1] op_sel_hi:[0,0] neg_hi:[0,1]
	v_pk_mul_f32 v[6:7], v[6:7], v[14:15] op_sel:[0,1] op_sel_hi:[0,0] neg_hi:[0,1]
	v_cmp_gt_u32_e32 vcc, s4, v0
	v_pk_add_f32 v[12:13], v[12:13], v[16:17] neg_lo:[0,1] neg_hi:[0,1]
	v_pk_fma_f32 v[10:11], v[18:19], v[24:25], v[10:11] op_sel_hi:[1,0,1] neg_lo:[1,0,0] neg_hi:[1,0,0]
	v_pk_fma_f32 v[6:7], v[14:15], v[28:29], v[6:7] op_sel_hi:[1,0,1] neg_lo:[1,0,0] neg_hi:[1,0,0]
	s_barrier
	ds_write_b64 v8, v[4:5]
	ds_write_b64 v1, v[12:13] offset:8192
	ds_write_b64 v1, v[10:11]
	ds_write_b64 v9, v[6:7]
	s_waitcnt lgkmcnt(0)
	s_barrier
	s_and_saveexec_b64 s[4:5], vcc
	s_cbranch_execz .LBB57_14
; %bb.9:
	v_or_b32_e32 v6, 0x80, v0
	v_or_b32_e32 v7, 0x2000, v1
	v_cmp_le_i32_e32 vcc, s8, v6
                                        ; implicit-def: $vgpr4_vgpr5
	s_and_saveexec_b64 s[6:7], vcc
	s_xor_b64 s[6:7], exec, s[6:7]
	s_cbranch_execz .LBB57_11
; %bb.10:
	ds_read_b64 v[4:5], v8
	ds_read_b64 v[6:7], v7
	s_waitcnt lgkmcnt(1)
	v_mul_f32_e32 v10, v5, v5
	v_fmac_f32_e32 v10, v4, v4
	v_div_scale_f32 v11, s[8:9], v10, v10, 1.0
	v_rcp_f32_e32 v12, v11
	v_div_scale_f32 v13, vcc, 1.0, v10, 1.0
	s_waitcnt lgkmcnt(0)
	v_pk_mul_f32 v[8:9], v[4:5], v[6:7] op_sel:[1,1] op_sel_hi:[1,0] neg_hi:[0,1]
	v_fma_f32 v14, -v11, v12, 1.0
	v_fmac_f32_e32 v12, v14, v12
	v_mul_f32_e32 v14, v13, v12
	v_fma_f32 v15, -v11, v14, v13
	v_fmac_f32_e32 v14, v15, v12
	v_fma_f32 v11, -v11, v14, v13
	v_div_fmas_f32 v11, v11, v12, v14
	v_div_fixup_f32 v10, v11, v10, 1.0
	v_pk_fma_f32 v[4:5], v[6:7], v[4:5], v[8:9] op_sel_hi:[1,0,1]
	v_pk_mul_f32 v[4:5], v[10:11], v[4:5] op_sel_hi:[0,1]
                                        ; implicit-def: $vgpr8
                                        ; implicit-def: $vgpr9
                                        ; implicit-def: $vgpr7
                                        ; implicit-def: $vgpr6
.LBB57_11:
	s_andn2_saveexec_b64 s[6:7], s[6:7]
	s_cbranch_execz .LBB57_13
; %bb.12:
	ds_read2st64_b64 v[10:13], v8 offset1:2
	ds_read_b64 v[4:5], v9
	ds_read_b64 v[8:9], v1 offset:1024
	s_waitcnt lgkmcnt(2)
	v_pk_mul_f32 v[14:15], v[10:11], v[12:13] op_sel:[1,1] op_sel_hi:[1,0] neg_lo:[0,1]
	v_pk_fma_f32 v[14:15], v[12:13], v[10:11], v[14:15] op_sel_hi:[1,0,1]
	s_waitcnt lgkmcnt(0)
	v_pk_mul_f32 v[16:17], v[8:9], v[4:5] op_sel:[1,1] op_sel_hi:[1,0] neg_lo:[0,1]
	v_pk_fma_f32 v[16:17], v[4:5], v[8:9], v[16:17] op_sel_hi:[1,0,1]
	v_pk_add_f32 v[18:19], v[14:15], v[16:17] neg_lo:[0,1] neg_hi:[0,1]
	v_mul_f32_e32 v0, v19, v19
	v_fmac_f32_e32 v0, v18, v18
	v_div_scale_f32 v20, s[8:9], v0, v0, 1.0
	v_rcp_f32_e32 v21, v20
	ds_read2st64_b64 v[14:17], v7 offset1:2
	v_fma_f32 v7, -v20, v21, 1.0
	v_fmac_f32_e32 v21, v7, v21
	v_div_scale_f32 v7, vcc, 1.0, v0, 1.0
	v_mul_f32_e32 v22, v7, v21
	v_fma_f32 v23, -v20, v22, v7
	v_fmac_f32_e32 v22, v23, v21
	v_fma_f32 v7, -v20, v22, v7
	v_div_fmas_f32 v7, v7, v21, v22
	s_waitcnt lgkmcnt(0)
	v_pk_mul_f32 v[20:21], v[14:15], v[12:13] op_sel:[1,1] op_sel_hi:[1,0] neg_lo:[0,1]
	v_pk_fma_f32 v[12:13], v[12:13], v[14:15], v[20:21] op_sel_hi:[1,0,1]
	v_pk_mul_f32 v[20:21], v[16:17], v[4:5] op_sel:[1,1] op_sel_hi:[1,0] neg_lo:[0,1]
	v_div_fixup_f32 v7, v7, v0, 1.0
	v_fma_f32 v0, 0, v19, v18
	v_fma_f32 v18, v18, 0, -v19
	v_pk_fma_f32 v[4:5], v[4:5], v[16:17], v[20:21] op_sel_hi:[1,0,1]
	v_mul_f32_e32 v18, v18, v7
	v_pk_add_f32 v[4:5], v[12:13], v[4:5] neg_lo:[0,1] neg_hi:[0,1]
	v_mul_f32_e32 v0, v0, v7
	v_pk_mul_f32 v[12:13], v[18:19], v[4:5] op_sel:[0,1] op_sel_hi:[0,0] neg_lo:[0,1]
	v_pk_fma_f32 v[4:5], v[4:5], v[0:1], v[12:13] op_sel_hi:[1,0,1]
	ds_write_b64 v1, v[4:5] offset:6144
	v_pk_mul_f32 v[4:5], v[10:11], v[16:17] op_sel:[1,1] op_sel_hi:[1,0] neg_lo:[0,1]
	v_pk_fma_f32 v[4:5], v[16:17], v[10:11], v[4:5] op_sel_hi:[1,0,1]
	v_pk_mul_f32 v[10:11], v[8:9], v[14:15] op_sel:[1,1] op_sel_hi:[1,0] neg_lo:[0,1]
	v_pk_fma_f32 v[8:9], v[14:15], v[8:9], v[10:11] op_sel_hi:[1,0,1]
	v_pk_add_f32 v[4:5], v[4:5], v[8:9] neg_lo:[0,1] neg_hi:[0,1]
	v_pk_mul_f32 v[8:9], v[18:19], v[4:5] op_sel:[0,1] op_sel_hi:[0,0] neg_lo:[0,1]
	v_pk_fma_f32 v[4:5], v[4:5], v[0:1], v[8:9] op_sel_hi:[1,0,1]
	v_mov_b32_e32 v0, v6
.LBB57_13:
	s_or_b64 exec, exec, s[6:7]
	v_lshlrev_b32_e32 v0, 3, v0
	ds_write_b64 v0, v[4:5] offset:6144
.LBB57_14:
	s_or_b64 exec, exec, s[4:5]
	s_waitcnt lgkmcnt(0)
	s_barrier
	s_and_saveexec_b64 s[4:5], s[0:1]
	s_cbranch_execz .LBB57_16
; %bb.15:
	ds_read_b64 v[0:1], v1 offset:6144
	v_lshlrev_b64 v[2:3], 3, v[2:3]
	v_mov_b32_e32 v4, s3
	v_add_co_u32_e32 v2, vcc, s2, v2
	v_addc_co_u32_e32 v3, vcc, v4, v3, vcc
	s_waitcnt lgkmcnt(0)
	global_store_dwordx2 v[2:3], v[0:1], off
.LBB57_16:
	s_endpgm
	.section	.rodata,"a",@progbits
	.p2align	6, 0x0
	.amdhsa_kernel _ZN9rocsparseL44gtsv_nopivot_strided_batch_pcr_shared_kernelILj256E21rocsparse_complex_numIfEEEviiiPKT0_S5_S5_PS3_
		.amdhsa_group_segment_fixed_size 10240
		.amdhsa_private_segment_fixed_size 0
		.amdhsa_kernarg_size 48
		.amdhsa_user_sgpr_count 6
		.amdhsa_user_sgpr_private_segment_buffer 1
		.amdhsa_user_sgpr_dispatch_ptr 0
		.amdhsa_user_sgpr_queue_ptr 0
		.amdhsa_user_sgpr_kernarg_segment_ptr 1
		.amdhsa_user_sgpr_dispatch_id 0
		.amdhsa_user_sgpr_flat_scratch_init 0
		.amdhsa_user_sgpr_kernarg_preload_length 0
		.amdhsa_user_sgpr_kernarg_preload_offset 0
		.amdhsa_user_sgpr_private_segment_size 0
		.amdhsa_uses_dynamic_stack 0
		.amdhsa_system_sgpr_private_segment_wavefront_offset 0
		.amdhsa_system_sgpr_workgroup_id_x 1
		.amdhsa_system_sgpr_workgroup_id_y 0
		.amdhsa_system_sgpr_workgroup_id_z 0
		.amdhsa_system_sgpr_workgroup_info 0
		.amdhsa_system_vgpr_workitem_id 0
		.amdhsa_next_free_vgpr 34
		.amdhsa_next_free_sgpr 10
		.amdhsa_accum_offset 36
		.amdhsa_reserve_vcc 1
		.amdhsa_reserve_flat_scratch 0
		.amdhsa_float_round_mode_32 0
		.amdhsa_float_round_mode_16_64 0
		.amdhsa_float_denorm_mode_32 3
		.amdhsa_float_denorm_mode_16_64 3
		.amdhsa_dx10_clamp 1
		.amdhsa_ieee_mode 1
		.amdhsa_fp16_overflow 0
		.amdhsa_tg_split 0
		.amdhsa_exception_fp_ieee_invalid_op 0
		.amdhsa_exception_fp_denorm_src 0
		.amdhsa_exception_fp_ieee_div_zero 0
		.amdhsa_exception_fp_ieee_overflow 0
		.amdhsa_exception_fp_ieee_underflow 0
		.amdhsa_exception_fp_ieee_inexact 0
		.amdhsa_exception_int_div_zero 0
	.end_amdhsa_kernel
	.section	.text._ZN9rocsparseL44gtsv_nopivot_strided_batch_pcr_shared_kernelILj256E21rocsparse_complex_numIfEEEviiiPKT0_S5_S5_PS3_,"axG",@progbits,_ZN9rocsparseL44gtsv_nopivot_strided_batch_pcr_shared_kernelILj256E21rocsparse_complex_numIfEEEviiiPKT0_S5_S5_PS3_,comdat
.Lfunc_end57:
	.size	_ZN9rocsparseL44gtsv_nopivot_strided_batch_pcr_shared_kernelILj256E21rocsparse_complex_numIfEEEviiiPKT0_S5_S5_PS3_, .Lfunc_end57-_ZN9rocsparseL44gtsv_nopivot_strided_batch_pcr_shared_kernelILj256E21rocsparse_complex_numIfEEEviiiPKT0_S5_S5_PS3_
                                        ; -- End function
	.section	.AMDGPU.csdata,"",@progbits
; Kernel info:
; codeLenInByte = 4584
; NumSgprs: 14
; NumVgprs: 34
; NumAgprs: 0
; TotalNumVgprs: 34
; ScratchSize: 0
; MemoryBound: 0
; FloatMode: 240
; IeeeMode: 1
; LDSByteSize: 10240 bytes/workgroup (compile time only)
; SGPRBlocks: 1
; VGPRBlocks: 4
; NumSGPRsForWavesPerEU: 14
; NumVGPRsForWavesPerEU: 34
; AccumOffset: 36
; Occupancy: 6
; WaveLimiterHint : 0
; COMPUTE_PGM_RSRC2:SCRATCH_EN: 0
; COMPUTE_PGM_RSRC2:USER_SGPR: 6
; COMPUTE_PGM_RSRC2:TRAP_HANDLER: 0
; COMPUTE_PGM_RSRC2:TGID_X_EN: 1
; COMPUTE_PGM_RSRC2:TGID_Y_EN: 0
; COMPUTE_PGM_RSRC2:TGID_Z_EN: 0
; COMPUTE_PGM_RSRC2:TIDIG_COMP_CNT: 0
; COMPUTE_PGM_RSRC3_GFX90A:ACCUM_OFFSET: 8
; COMPUTE_PGM_RSRC3_GFX90A:TG_SPLIT: 0
	.section	.text._ZN9rocsparseL44gtsv_nopivot_strided_batch_pcr_shared_kernelILj512E21rocsparse_complex_numIfEEEviiiPKT0_S5_S5_PS3_,"axG",@progbits,_ZN9rocsparseL44gtsv_nopivot_strided_batch_pcr_shared_kernelILj512E21rocsparse_complex_numIfEEEviiiPKT0_S5_S5_PS3_,comdat
	.globl	_ZN9rocsparseL44gtsv_nopivot_strided_batch_pcr_shared_kernelILj512E21rocsparse_complex_numIfEEEviiiPKT0_S5_S5_PS3_ ; -- Begin function _ZN9rocsparseL44gtsv_nopivot_strided_batch_pcr_shared_kernelILj512E21rocsparse_complex_numIfEEEviiiPKT0_S5_S5_PS3_
	.p2align	8
	.type	_ZN9rocsparseL44gtsv_nopivot_strided_batch_pcr_shared_kernelILj512E21rocsparse_complex_numIfEEEviiiPKT0_S5_S5_PS3_,@function
_ZN9rocsparseL44gtsv_nopivot_strided_batch_pcr_shared_kernelILj512E21rocsparse_complex_numIfEEEviiiPKT0_S5_S5_PS3_: ; @_ZN9rocsparseL44gtsv_nopivot_strided_batch_pcr_shared_kernelILj512E21rocsparse_complex_numIfEEEviiiPKT0_S5_S5_PS3_
; %bb.0:
	s_load_dword s0, s[4:5], 0x8
	s_load_dword s8, s[4:5], 0x0
	v_mov_b32_e32 v4, 0
	v_mov_b32_e32 v6, 0
	;; [unrolled: 1-line block ×3, first 2 shown]
	s_waitcnt lgkmcnt(0)
	s_mul_i32 s6, s6, s0
	v_add_u32_e32 v2, s6, v0
	v_cmp_gt_i32_e64 s[0:1], s8, v0
	v_ashrrev_i32_e32 v3, 31, v2
	s_and_saveexec_b64 s[2:3], s[0:1]
	s_cbranch_execz .LBB58_2
; %bb.1:
	s_load_dwordx2 s[6:7], s[4:5], 0x10
	v_lshlrev_b64 v[6:7], 3, v[2:3]
	s_waitcnt lgkmcnt(0)
	v_mov_b32_e32 v1, s7
	v_add_co_u32_e32 v6, vcc, s6, v6
	v_addc_co_u32_e32 v7, vcc, v1, v7, vcc
	global_load_dwordx2 v[6:7], v[6:7], off
.LBB58_2:
	s_or_b64 exec, exec, s[2:3]
	v_lshlrev_b32_e32 v1, 3, v0
	v_mov_b32_e32 v5, 0
	s_waitcnt vmcnt(0)
	ds_write_b64 v1, v[6:7]
	s_and_saveexec_b64 s[2:3], s[0:1]
	s_cbranch_execz .LBB58_4
; %bb.3:
	s_load_dwordx2 s[6:7], s[4:5], 0x18
	v_lshlrev_b64 v[4:5], 3, v[2:3]
	s_waitcnt lgkmcnt(0)
	v_mov_b32_e32 v6, s7
	v_add_co_u32_e32 v4, vcc, s6, v4
	v_addc_co_u32_e32 v5, vcc, v6, v5, vcc
	global_load_dwordx2 v[4:5], v[4:5], off
.LBB58_4:
	s_or_b64 exec, exec, s[2:3]
	s_load_dwordx2 s[2:3], s[4:5], 0x28
	s_waitcnt vmcnt(0)
	ds_write_b64 v1, v[4:5] offset:4096
	v_mov_b32_e32 v4, 0
	v_mov_b32_e32 v6, 0
	;; [unrolled: 1-line block ×3, first 2 shown]
	s_and_saveexec_b64 s[6:7], s[0:1]
	s_cbranch_execz .LBB58_6
; %bb.5:
	s_load_dwordx2 s[4:5], s[4:5], 0x20
	v_lshlrev_b64 v[6:7], 3, v[2:3]
	s_waitcnt lgkmcnt(0)
	v_mov_b32_e32 v5, s5
	v_add_co_u32_e32 v6, vcc, s4, v6
	v_addc_co_u32_e32 v7, vcc, v5, v7, vcc
	global_load_dwordx2 v[6:7], v[6:7], off
.LBB58_6:
	s_or_b64 exec, exec, s[6:7]
	v_or_b32_e32 v8, 0x1000, v1
	v_or_b32_e32 v9, 0x2000, v1
	v_mov_b32_e32 v5, 0
	s_waitcnt vmcnt(0)
	ds_write_b64 v1, v[6:7] offset:8192
	s_and_saveexec_b64 s[4:5], s[0:1]
	s_cbranch_execz .LBB58_8
; %bb.7:
	v_lshlrev_b64 v[4:5], 3, v[2:3]
	s_waitcnt lgkmcnt(0)
	v_mov_b32_e32 v6, s3
	v_add_co_u32_e32 v4, vcc, s2, v4
	v_addc_co_u32_e32 v5, vcc, v6, v5, vcc
	global_load_dwordx2 v[4:5], v[4:5], off
.LBB58_8:
	s_or_b64 exec, exec, s[4:5]
	s_waitcnt vmcnt(0)
	ds_write_b64 v1, v[4:5] offset:16384
	v_max_i32_e32 v4, 1, v0
	v_lshlrev_b32_e32 v5, 3, v4
	v_add_u32_e32 v4, 0x1f8, v5
	s_waitcnt lgkmcnt(0)
	s_barrier
	ds_read2st64_b64 v[10:13], v4 offset0:7 offset1:15
	s_add_i32 s4, s8, -1
	v_mov_b32_e32 v4, s4
	v_add_u32_e32 v6, 1, v0
	v_cmp_gt_i32_e32 vcc, s8, v6
	s_waitcnt lgkmcnt(0)
	v_mul_f32_e32 v14, v11, v11
	v_fmac_f32_e32 v14, v10, v10
	v_div_scale_f32 v15, s[4:5], v14, v14, 1.0
	v_rcp_f32_e32 v16, v15
	v_cndmask_b32_e32 v17, v4, v6, vcc
	ds_read_b64 v[6:7], v1
	v_lshlrev_b32_e32 v27, 3, v17
	v_fma_f32 v19, -v15, v16, 1.0
	v_fmac_f32_e32 v16, v19, v16
	v_div_scale_f32 v19, vcc, 1.0, v14, 1.0
	v_mul_f32_e32 v20, v19, v16
	v_fma_f32 v21, -v15, v20, v19
	v_fmac_f32_e32 v20, v21, v16
	v_fma_f32 v15, -v15, v20, v19
	v_div_fmas_f32 v15, v15, v16, v20
	v_add_u32_e32 v18, -8, v5
	v_div_fixup_f32 v19, v15, v14, 1.0
	ds_read2st64_b64 v[14:17], v27 offset1:8
	ds_read_b64 v[20:21], v18
	ds_read_b64 v[22:23], v5 offset:16376
	ds_read_b64 v[24:25], v1 offset:16384
	s_waitcnt lgkmcnt(4)
	v_mul_f32_e32 v5, v11, v7
	v_fmac_f32_e32 v5, v6, v10
	v_mul_f32_e32 v26, v19, v5
	s_waitcnt lgkmcnt(3)
	v_mul_f32_e32 v5, v17, v17
	v_fmac_f32_e32 v5, v16, v16
	v_div_scale_f32 v18, s[4:5], v5, v5, 1.0
	v_rcp_f32_e32 v28, v18
	v_mul_f32_e64 v6, v11, -v6
	v_fmac_f32_e32 v6, v7, v10
	v_mul_f32_e32 v6, v6, v19
	v_fma_f32 v7, -v18, v28, 1.0
	v_fmac_f32_e32 v28, v7, v28
	v_div_scale_f32 v7, vcc, 1.0, v5, 1.0
	v_mul_f32_e32 v19, v7, v28
	v_fma_f32 v10, -v18, v19, v7
	v_fmac_f32_e32 v19, v10, v28
	ds_read_b64 v[10:11], v9
	v_fma_f32 v7, -v18, v19, v7
	v_div_fmas_f32 v7, v7, v28, v19
	ds_read_b64 v[28:29], v8
	v_div_fixup_f32 v5, v7, v5, 1.0
	s_waitcnt lgkmcnt(1)
	v_mul_f32_e32 v7, v17, v11
	v_fmac_f32_e32 v7, v10, v16
	v_mul_f32_e32 v30, v5, v7
	v_mul_f32_e64 v7, v17, -v10
	v_fmac_f32_e32 v7, v11, v16
	ds_read2st64_b64 v[16:19], v27 offset0:16 offset1:32
	v_pk_mul_f32 v[32:33], v[6:7], v[12:13] op_sel:[0,1] op_sel_hi:[0,0] neg_lo:[0,1]
	v_mul_f32_e32 v10, v7, v5
	v_pk_fma_f32 v[12:13], v[12:13], v[26:27], v[32:33] op_sel_hi:[1,0,1]
	s_waitcnt lgkmcnt(1)
	v_pk_add_f32 v[12:13], v[28:29], v[12:13] neg_lo:[0,1] neg_hi:[0,1]
	v_pk_mul_f32 v[28:29], v[10:11], v[14:15] op_sel:[0,1] op_sel_hi:[0,0] neg_lo:[0,1]
	v_pk_fma_f32 v[14:15], v[14:15], v[30:31], v[28:29] op_sel_hi:[1,0,1]
	v_pk_add_f32 v[12:13], v[12:13], v[14:15] neg_lo:[0,1] neg_hi:[0,1]
	v_pk_mul_f32 v[14:15], v[6:7], v[22:23] op_sel:[0,1] op_sel_hi:[0,0] neg_lo:[0,1]
	v_pk_fma_f32 v[14:15], v[22:23], v[26:27], v[14:15] op_sel_hi:[1,0,1]
	s_waitcnt lgkmcnt(0)
	v_pk_mul_f32 v[22:23], v[10:11], v[18:19] op_sel:[0,1] op_sel_hi:[0,0] neg_lo:[0,1]
	v_pk_mul_f32 v[6:7], v[6:7], v[20:21] op_sel:[0,1] op_sel_hi:[0,0] neg_hi:[0,1]
	v_max_i32_e32 v5, 2, v0
	v_pk_add_f32 v[14:15], v[24:25], v[14:15] neg_lo:[0,1] neg_hi:[0,1]
	v_pk_fma_f32 v[18:19], v[18:19], v[30:31], v[22:23] op_sel_hi:[1,0,1]
	v_pk_fma_f32 v[6:7], v[20:21], v[26:27], v[6:7] op_sel_hi:[1,0,1] neg_lo:[1,0,0] neg_hi:[1,0,0]
	v_pk_mul_f32 v[10:11], v[10:11], v[16:17] op_sel:[0,1] op_sel_hi:[0,0] neg_hi:[0,1]
	v_lshlrev_b32_e32 v5, 3, v5
	v_pk_add_f32 v[14:15], v[14:15], v[18:19] neg_lo:[0,1] neg_hi:[0,1]
	v_pk_fma_f32 v[10:11], v[16:17], v[30:31], v[10:11] op_sel_hi:[1,0,1] neg_lo:[1,0,0] neg_hi:[1,0,0]
	s_barrier
	ds_write_b64 v8, v[12:13]
	ds_write_b64 v1, v[14:15] offset:16384
	ds_write_b64 v1, v[6:7]
	ds_write_b64 v9, v[10:11]
	v_add_u32_e32 v6, 0x1f0, v5
	s_waitcnt lgkmcnt(0)
	s_barrier
	ds_read2st64_b64 v[10:13], v6 offset0:7 offset1:15
	v_add_u32_e32 v6, 2, v0
	v_cmp_gt_i32_e32 vcc, s8, v6
	v_cndmask_b32_e32 v17, v4, v6, vcc
	ds_read_b64 v[6:7], v1
	s_waitcnt lgkmcnt(1)
	v_mul_f32_e32 v14, v11, v11
	v_fmac_f32_e32 v14, v10, v10
	v_div_scale_f32 v15, s[4:5], v14, v14, 1.0
	v_rcp_f32_e32 v16, v15
	v_lshlrev_b32_e32 v27, 3, v17
	v_add_u32_e32 v18, -16, v5
	s_movk_i32 s6, 0x100
	v_fma_f32 v19, -v15, v16, 1.0
	v_fmac_f32_e32 v16, v19, v16
	v_div_scale_f32 v19, vcc, 1.0, v14, 1.0
	v_mul_f32_e32 v20, v19, v16
	v_fma_f32 v21, -v15, v20, v19
	v_fmac_f32_e32 v20, v21, v16
	v_fma_f32 v15, -v15, v20, v19
	v_div_fmas_f32 v15, v15, v16, v20
	v_div_fixup_f32 v19, v15, v14, 1.0
	ds_read2st64_b64 v[14:17], v27 offset1:8
	ds_read_b64 v[20:21], v18
	ds_read_b64 v[22:23], v5 offset:16368
	ds_read_b64 v[24:25], v1 offset:16384
	s_waitcnt lgkmcnt(4)
	v_mul_f32_e32 v5, v11, v7
	v_fmac_f32_e32 v5, v6, v10
	v_mul_f32_e32 v26, v19, v5
	s_waitcnt lgkmcnt(3)
	v_mul_f32_e32 v5, v17, v17
	v_fmac_f32_e32 v5, v16, v16
	v_div_scale_f32 v18, s[4:5], v5, v5, 1.0
	v_rcp_f32_e32 v28, v18
	v_mul_f32_e64 v6, v11, -v6
	v_fmac_f32_e32 v6, v7, v10
	v_mul_f32_e32 v6, v6, v19
	v_fma_f32 v7, -v18, v28, 1.0
	v_fmac_f32_e32 v28, v7, v28
	v_div_scale_f32 v7, vcc, 1.0, v5, 1.0
	v_mul_f32_e32 v19, v7, v28
	v_fma_f32 v10, -v18, v19, v7
	v_fmac_f32_e32 v19, v10, v28
	ds_read_b64 v[10:11], v9
	v_fma_f32 v7, -v18, v19, v7
	v_div_fmas_f32 v7, v7, v28, v19
	ds_read_b64 v[28:29], v8
	v_div_fixup_f32 v5, v7, v5, 1.0
	s_waitcnt lgkmcnt(1)
	v_mul_f32_e32 v7, v17, v11
	v_fmac_f32_e32 v7, v10, v16
	v_mul_f32_e32 v30, v5, v7
	v_mul_f32_e64 v7, v17, -v10
	v_fmac_f32_e32 v7, v11, v16
	ds_read2st64_b64 v[16:19], v27 offset0:16 offset1:32
	v_pk_mul_f32 v[32:33], v[6:7], v[12:13] op_sel:[0,1] op_sel_hi:[0,0] neg_lo:[0,1]
	v_mul_f32_e32 v10, v7, v5
	v_pk_fma_f32 v[12:13], v[12:13], v[26:27], v[32:33] op_sel_hi:[1,0,1]
	s_waitcnt lgkmcnt(1)
	v_pk_add_f32 v[12:13], v[28:29], v[12:13] neg_lo:[0,1] neg_hi:[0,1]
	v_pk_mul_f32 v[28:29], v[10:11], v[14:15] op_sel:[0,1] op_sel_hi:[0,0] neg_lo:[0,1]
	v_pk_fma_f32 v[14:15], v[14:15], v[30:31], v[28:29] op_sel_hi:[1,0,1]
	v_pk_add_f32 v[12:13], v[12:13], v[14:15] neg_lo:[0,1] neg_hi:[0,1]
	v_pk_mul_f32 v[14:15], v[6:7], v[22:23] op_sel:[0,1] op_sel_hi:[0,0] neg_lo:[0,1]
	v_pk_fma_f32 v[14:15], v[22:23], v[26:27], v[14:15] op_sel_hi:[1,0,1]
	s_waitcnt lgkmcnt(0)
	v_pk_mul_f32 v[22:23], v[10:11], v[18:19] op_sel:[0,1] op_sel_hi:[0,0] neg_lo:[0,1]
	v_pk_mul_f32 v[6:7], v[6:7], v[20:21] op_sel:[0,1] op_sel_hi:[0,0] neg_hi:[0,1]
	v_max_i32_e32 v5, 4, v0
	v_pk_add_f32 v[14:15], v[24:25], v[14:15] neg_lo:[0,1] neg_hi:[0,1]
	v_pk_fma_f32 v[18:19], v[18:19], v[30:31], v[22:23] op_sel_hi:[1,0,1]
	v_pk_fma_f32 v[6:7], v[20:21], v[26:27], v[6:7] op_sel_hi:[1,0,1] neg_lo:[1,0,0] neg_hi:[1,0,0]
	v_pk_mul_f32 v[10:11], v[10:11], v[16:17] op_sel:[0,1] op_sel_hi:[0,0] neg_hi:[0,1]
	v_lshlrev_b32_e32 v5, 3, v5
	v_pk_add_f32 v[14:15], v[14:15], v[18:19] neg_lo:[0,1] neg_hi:[0,1]
	v_pk_fma_f32 v[10:11], v[16:17], v[30:31], v[10:11] op_sel_hi:[1,0,1] neg_lo:[1,0,0] neg_hi:[1,0,0]
	s_barrier
	ds_write_b64 v8, v[12:13]
	ds_write_b64 v1, v[14:15] offset:16384
	ds_write_b64 v1, v[6:7]
	ds_write_b64 v9, v[10:11]
	v_add_u32_e32 v6, 0x1e0, v5
	s_waitcnt lgkmcnt(0)
	s_barrier
	ds_read2st64_b64 v[10:13], v6 offset0:7 offset1:15
	v_add_u32_e32 v6, 4, v0
	v_cmp_gt_i32_e32 vcc, s8, v6
	v_cndmask_b32_e32 v17, v4, v6, vcc
	ds_read_b64 v[6:7], v1
	s_waitcnt lgkmcnt(1)
	v_mul_f32_e32 v14, v11, v11
	v_fmac_f32_e32 v14, v10, v10
	v_div_scale_f32 v15, s[4:5], v14, v14, 1.0
	v_rcp_f32_e32 v16, v15
	v_lshlrev_b32_e32 v27, 3, v17
	v_subrev_u32_e32 v18, 32, v5
	v_fma_f32 v19, -v15, v16, 1.0
	v_fmac_f32_e32 v16, v19, v16
	v_div_scale_f32 v19, vcc, 1.0, v14, 1.0
	v_mul_f32_e32 v20, v19, v16
	v_fma_f32 v21, -v15, v20, v19
	v_fmac_f32_e32 v20, v21, v16
	v_fma_f32 v15, -v15, v20, v19
	v_div_fmas_f32 v15, v15, v16, v20
	v_div_fixup_f32 v19, v15, v14, 1.0
	ds_read2st64_b64 v[14:17], v27 offset1:8
	ds_read_b64 v[20:21], v18
	ds_read_b64 v[22:23], v5 offset:16352
	ds_read_b64 v[24:25], v1 offset:16384
	s_waitcnt lgkmcnt(4)
	v_mul_f32_e32 v5, v11, v7
	v_fmac_f32_e32 v5, v6, v10
	v_mul_f32_e32 v26, v19, v5
	s_waitcnt lgkmcnt(3)
	v_mul_f32_e32 v5, v17, v17
	v_fmac_f32_e32 v5, v16, v16
	v_div_scale_f32 v18, s[4:5], v5, v5, 1.0
	v_rcp_f32_e32 v28, v18
	v_mul_f32_e64 v6, v11, -v6
	v_fmac_f32_e32 v6, v7, v10
	v_mul_f32_e32 v6, v6, v19
	v_fma_f32 v7, -v18, v28, 1.0
	v_fmac_f32_e32 v28, v7, v28
	v_div_scale_f32 v7, vcc, 1.0, v5, 1.0
	v_mul_f32_e32 v19, v7, v28
	v_fma_f32 v10, -v18, v19, v7
	v_fmac_f32_e32 v19, v10, v28
	ds_read_b64 v[10:11], v9
	v_fma_f32 v7, -v18, v19, v7
	v_div_fmas_f32 v7, v7, v28, v19
	ds_read_b64 v[28:29], v8
	v_div_fixup_f32 v5, v7, v5, 1.0
	s_waitcnt lgkmcnt(1)
	v_mul_f32_e32 v7, v17, v11
	v_fmac_f32_e32 v7, v10, v16
	v_mul_f32_e32 v30, v5, v7
	v_mul_f32_e64 v7, v17, -v10
	v_fmac_f32_e32 v7, v11, v16
	ds_read2st64_b64 v[16:19], v27 offset0:16 offset1:32
	v_pk_mul_f32 v[32:33], v[6:7], v[12:13] op_sel:[0,1] op_sel_hi:[0,0] neg_lo:[0,1]
	v_mul_f32_e32 v10, v7, v5
	v_pk_fma_f32 v[12:13], v[12:13], v[26:27], v[32:33] op_sel_hi:[1,0,1]
	s_waitcnt lgkmcnt(1)
	v_pk_add_f32 v[12:13], v[28:29], v[12:13] neg_lo:[0,1] neg_hi:[0,1]
	v_pk_mul_f32 v[28:29], v[10:11], v[14:15] op_sel:[0,1] op_sel_hi:[0,0] neg_lo:[0,1]
	v_pk_fma_f32 v[14:15], v[14:15], v[30:31], v[28:29] op_sel_hi:[1,0,1]
	v_pk_add_f32 v[12:13], v[12:13], v[14:15] neg_lo:[0,1] neg_hi:[0,1]
	v_pk_mul_f32 v[14:15], v[6:7], v[22:23] op_sel:[0,1] op_sel_hi:[0,0] neg_lo:[0,1]
	v_pk_fma_f32 v[14:15], v[22:23], v[26:27], v[14:15] op_sel_hi:[1,0,1]
	s_waitcnt lgkmcnt(0)
	v_pk_mul_f32 v[22:23], v[10:11], v[18:19] op_sel:[0,1] op_sel_hi:[0,0] neg_lo:[0,1]
	v_pk_mul_f32 v[6:7], v[6:7], v[20:21] op_sel:[0,1] op_sel_hi:[0,0] neg_hi:[0,1]
	v_max_i32_e32 v5, 8, v0
	v_pk_add_f32 v[14:15], v[24:25], v[14:15] neg_lo:[0,1] neg_hi:[0,1]
	v_pk_fma_f32 v[18:19], v[18:19], v[30:31], v[22:23] op_sel_hi:[1,0,1]
	v_pk_fma_f32 v[6:7], v[20:21], v[26:27], v[6:7] op_sel_hi:[1,0,1] neg_lo:[1,0,0] neg_hi:[1,0,0]
	v_pk_mul_f32 v[10:11], v[10:11], v[16:17] op_sel:[0,1] op_sel_hi:[0,0] neg_hi:[0,1]
	v_lshlrev_b32_e32 v5, 3, v5
	v_pk_add_f32 v[14:15], v[14:15], v[18:19] neg_lo:[0,1] neg_hi:[0,1]
	v_pk_fma_f32 v[10:11], v[16:17], v[30:31], v[10:11] op_sel_hi:[1,0,1] neg_lo:[1,0,0] neg_hi:[1,0,0]
	s_barrier
	ds_write_b64 v8, v[12:13]
	ds_write_b64 v1, v[14:15] offset:16384
	ds_write_b64 v1, v[6:7]
	ds_write_b64 v9, v[10:11]
	v_add_u32_e32 v6, 0x1c0, v5
	s_waitcnt lgkmcnt(0)
	s_barrier
	ds_read2st64_b64 v[10:13], v6 offset0:7 offset1:15
	v_add_u32_e32 v6, 8, v0
	v_cmp_gt_i32_e32 vcc, s8, v6
	v_cndmask_b32_e32 v17, v4, v6, vcc
	ds_read_b64 v[6:7], v1
	s_waitcnt lgkmcnt(1)
	v_mul_f32_e32 v14, v11, v11
	v_fmac_f32_e32 v14, v10, v10
	v_div_scale_f32 v15, s[4:5], v14, v14, 1.0
	v_rcp_f32_e32 v16, v15
	v_lshlrev_b32_e32 v27, 3, v17
	v_subrev_u32_e32 v18, 64, v5
	v_fma_f32 v19, -v15, v16, 1.0
	v_fmac_f32_e32 v16, v19, v16
	v_div_scale_f32 v19, vcc, 1.0, v14, 1.0
	v_mul_f32_e32 v20, v19, v16
	v_fma_f32 v21, -v15, v20, v19
	v_fmac_f32_e32 v20, v21, v16
	v_fma_f32 v15, -v15, v20, v19
	v_div_fmas_f32 v15, v15, v16, v20
	v_div_fixup_f32 v19, v15, v14, 1.0
	ds_read2st64_b64 v[14:17], v27 offset1:8
	ds_read_b64 v[20:21], v18
	ds_read_b64 v[22:23], v5 offset:16320
	ds_read_b64 v[24:25], v1 offset:16384
	s_waitcnt lgkmcnt(4)
	v_mul_f32_e32 v5, v11, v7
	v_fmac_f32_e32 v5, v6, v10
	v_mul_f32_e32 v26, v19, v5
	s_waitcnt lgkmcnt(3)
	v_mul_f32_e32 v5, v17, v17
	v_fmac_f32_e32 v5, v16, v16
	v_div_scale_f32 v18, s[4:5], v5, v5, 1.0
	v_rcp_f32_e32 v28, v18
	v_mul_f32_e64 v6, v11, -v6
	v_fmac_f32_e32 v6, v7, v10
	v_mul_f32_e32 v6, v6, v19
	v_fma_f32 v7, -v18, v28, 1.0
	v_fmac_f32_e32 v28, v7, v28
	v_div_scale_f32 v7, vcc, 1.0, v5, 1.0
	v_mul_f32_e32 v19, v7, v28
	v_fma_f32 v10, -v18, v19, v7
	v_fmac_f32_e32 v19, v10, v28
	ds_read_b64 v[10:11], v9
	v_fma_f32 v7, -v18, v19, v7
	v_div_fmas_f32 v7, v7, v28, v19
	ds_read_b64 v[28:29], v8
	v_div_fixup_f32 v5, v7, v5, 1.0
	s_waitcnt lgkmcnt(1)
	v_mul_f32_e32 v7, v17, v11
	v_fmac_f32_e32 v7, v10, v16
	v_mul_f32_e32 v30, v5, v7
	v_mul_f32_e64 v7, v17, -v10
	v_fmac_f32_e32 v7, v11, v16
	ds_read2st64_b64 v[16:19], v27 offset0:16 offset1:32
	v_pk_mul_f32 v[32:33], v[6:7], v[12:13] op_sel:[0,1] op_sel_hi:[0,0] neg_lo:[0,1]
	v_mul_f32_e32 v10, v7, v5
	v_pk_fma_f32 v[12:13], v[12:13], v[26:27], v[32:33] op_sel_hi:[1,0,1]
	s_waitcnt lgkmcnt(1)
	v_pk_add_f32 v[12:13], v[28:29], v[12:13] neg_lo:[0,1] neg_hi:[0,1]
	v_pk_mul_f32 v[28:29], v[10:11], v[14:15] op_sel:[0,1] op_sel_hi:[0,0] neg_lo:[0,1]
	v_pk_fma_f32 v[14:15], v[14:15], v[30:31], v[28:29] op_sel_hi:[1,0,1]
	v_pk_add_f32 v[12:13], v[12:13], v[14:15] neg_lo:[0,1] neg_hi:[0,1]
	v_pk_mul_f32 v[14:15], v[6:7], v[22:23] op_sel:[0,1] op_sel_hi:[0,0] neg_lo:[0,1]
	v_pk_fma_f32 v[14:15], v[22:23], v[26:27], v[14:15] op_sel_hi:[1,0,1]
	s_waitcnt lgkmcnt(0)
	v_pk_mul_f32 v[22:23], v[10:11], v[18:19] op_sel:[0,1] op_sel_hi:[0,0] neg_lo:[0,1]
	v_pk_mul_f32 v[6:7], v[6:7], v[20:21] op_sel:[0,1] op_sel_hi:[0,0] neg_hi:[0,1]
	v_max_i32_e32 v5, 16, v0
	v_pk_add_f32 v[14:15], v[24:25], v[14:15] neg_lo:[0,1] neg_hi:[0,1]
	v_pk_fma_f32 v[18:19], v[18:19], v[30:31], v[22:23] op_sel_hi:[1,0,1]
	v_pk_fma_f32 v[6:7], v[20:21], v[26:27], v[6:7] op_sel_hi:[1,0,1] neg_lo:[1,0,0] neg_hi:[1,0,0]
	v_pk_mul_f32 v[10:11], v[10:11], v[16:17] op_sel:[0,1] op_sel_hi:[0,0] neg_hi:[0,1]
	v_lshlrev_b32_e32 v5, 3, v5
	v_pk_add_f32 v[14:15], v[14:15], v[18:19] neg_lo:[0,1] neg_hi:[0,1]
	v_pk_fma_f32 v[10:11], v[16:17], v[30:31], v[10:11] op_sel_hi:[1,0,1] neg_lo:[1,0,0] neg_hi:[1,0,0]
	s_barrier
	ds_write_b64 v8, v[12:13]
	ds_write_b64 v1, v[14:15] offset:16384
	ds_write_b64 v1, v[6:7]
	ds_write_b64 v9, v[10:11]
	v_add_u32_e32 v6, 0x180, v5
	s_waitcnt lgkmcnt(0)
	s_barrier
	ds_read2st64_b64 v[10:13], v6 offset0:7 offset1:15
	v_add_u32_e32 v6, 16, v0
	v_cmp_gt_i32_e32 vcc, s8, v6
	v_cndmask_b32_e32 v17, v4, v6, vcc
	ds_read_b64 v[6:7], v1
	s_waitcnt lgkmcnt(1)
	v_mul_f32_e32 v14, v11, v11
	v_fmac_f32_e32 v14, v10, v10
	v_div_scale_f32 v15, s[4:5], v14, v14, 1.0
	v_rcp_f32_e32 v16, v15
	v_lshlrev_b32_e32 v27, 3, v17
	v_add_u32_e32 v18, 0xffffff80, v5
	v_fma_f32 v19, -v15, v16, 1.0
	v_fmac_f32_e32 v16, v19, v16
	v_div_scale_f32 v19, vcc, 1.0, v14, 1.0
	v_mul_f32_e32 v20, v19, v16
	v_fma_f32 v21, -v15, v20, v19
	v_fmac_f32_e32 v20, v21, v16
	v_fma_f32 v15, -v15, v20, v19
	v_div_fmas_f32 v15, v15, v16, v20
	v_div_fixup_f32 v19, v15, v14, 1.0
	ds_read2st64_b64 v[14:17], v27 offset1:8
	ds_read_b64 v[20:21], v18
	ds_read_b64 v[22:23], v5 offset:16256
	ds_read_b64 v[24:25], v1 offset:16384
	s_waitcnt lgkmcnt(4)
	v_mul_f32_e32 v5, v11, v7
	v_fmac_f32_e32 v5, v6, v10
	v_mul_f32_e32 v26, v19, v5
	s_waitcnt lgkmcnt(3)
	v_mul_f32_e32 v5, v17, v17
	v_fmac_f32_e32 v5, v16, v16
	v_div_scale_f32 v18, s[4:5], v5, v5, 1.0
	v_rcp_f32_e32 v28, v18
	v_mul_f32_e64 v6, v11, -v6
	v_fmac_f32_e32 v6, v7, v10
	v_mul_f32_e32 v6, v6, v19
	v_fma_f32 v7, -v18, v28, 1.0
	v_fmac_f32_e32 v28, v7, v28
	v_div_scale_f32 v7, vcc, 1.0, v5, 1.0
	v_mul_f32_e32 v19, v7, v28
	v_fma_f32 v10, -v18, v19, v7
	v_fmac_f32_e32 v19, v10, v28
	ds_read_b64 v[10:11], v9
	v_fma_f32 v7, -v18, v19, v7
	v_div_fmas_f32 v7, v7, v28, v19
	ds_read_b64 v[28:29], v8
	v_div_fixup_f32 v5, v7, v5, 1.0
	s_waitcnt lgkmcnt(1)
	v_mul_f32_e32 v7, v17, v11
	v_fmac_f32_e32 v7, v10, v16
	v_mul_f32_e32 v30, v5, v7
	v_mul_f32_e64 v7, v17, -v10
	v_fmac_f32_e32 v7, v11, v16
	ds_read2st64_b64 v[16:19], v27 offset0:16 offset1:32
	v_pk_mul_f32 v[32:33], v[6:7], v[12:13] op_sel:[0,1] op_sel_hi:[0,0] neg_lo:[0,1]
	v_mul_f32_e32 v10, v7, v5
	v_pk_fma_f32 v[12:13], v[12:13], v[26:27], v[32:33] op_sel_hi:[1,0,1]
	s_waitcnt lgkmcnt(1)
	v_pk_add_f32 v[12:13], v[28:29], v[12:13] neg_lo:[0,1] neg_hi:[0,1]
	v_pk_mul_f32 v[28:29], v[10:11], v[14:15] op_sel:[0,1] op_sel_hi:[0,0] neg_lo:[0,1]
	v_pk_fma_f32 v[14:15], v[14:15], v[30:31], v[28:29] op_sel_hi:[1,0,1]
	v_pk_add_f32 v[12:13], v[12:13], v[14:15] neg_lo:[0,1] neg_hi:[0,1]
	v_pk_mul_f32 v[14:15], v[6:7], v[22:23] op_sel:[0,1] op_sel_hi:[0,0] neg_lo:[0,1]
	v_pk_fma_f32 v[14:15], v[22:23], v[26:27], v[14:15] op_sel_hi:[1,0,1]
	s_waitcnt lgkmcnt(0)
	v_pk_mul_f32 v[22:23], v[10:11], v[18:19] op_sel:[0,1] op_sel_hi:[0,0] neg_lo:[0,1]
	v_pk_mul_f32 v[6:7], v[6:7], v[20:21] op_sel:[0,1] op_sel_hi:[0,0] neg_hi:[0,1]
	v_max_i32_e32 v5, 32, v0
	v_pk_add_f32 v[14:15], v[24:25], v[14:15] neg_lo:[0,1] neg_hi:[0,1]
	v_pk_fma_f32 v[18:19], v[18:19], v[30:31], v[22:23] op_sel_hi:[1,0,1]
	v_pk_fma_f32 v[6:7], v[20:21], v[26:27], v[6:7] op_sel_hi:[1,0,1] neg_lo:[1,0,0] neg_hi:[1,0,0]
	v_pk_mul_f32 v[10:11], v[10:11], v[16:17] op_sel:[0,1] op_sel_hi:[0,0] neg_hi:[0,1]
	v_lshlrev_b32_e32 v5, 3, v5
	v_pk_add_f32 v[14:15], v[14:15], v[18:19] neg_lo:[0,1] neg_hi:[0,1]
	v_pk_fma_f32 v[10:11], v[16:17], v[30:31], v[10:11] op_sel_hi:[1,0,1] neg_lo:[1,0,0] neg_hi:[1,0,0]
	s_barrier
	ds_write_b64 v8, v[12:13]
	ds_write_b64 v1, v[14:15] offset:16384
	ds_write_b64 v1, v[6:7]
	ds_write_b64 v9, v[10:11]
	v_add_u32_e32 v6, 0x100, v5
	s_waitcnt lgkmcnt(0)
	s_barrier
	ds_read2st64_b64 v[10:13], v6 offset0:7 offset1:15
	v_add_u32_e32 v6, 32, v0
	v_cmp_gt_i32_e32 vcc, s8, v6
	v_cndmask_b32_e32 v17, v4, v6, vcc
	ds_read_b64 v[6:7], v1
	s_waitcnt lgkmcnt(1)
	v_mul_f32_e32 v14, v11, v11
	v_fmac_f32_e32 v14, v10, v10
	v_div_scale_f32 v15, s[4:5], v14, v14, 1.0
	v_rcp_f32_e32 v16, v15
	v_lshlrev_b32_e32 v27, 3, v17
	v_add_u32_e32 v18, 0xffffff00, v5
	v_fma_f32 v19, -v15, v16, 1.0
	v_fmac_f32_e32 v16, v19, v16
	v_div_scale_f32 v19, vcc, 1.0, v14, 1.0
	v_mul_f32_e32 v20, v19, v16
	v_fma_f32 v21, -v15, v20, v19
	v_fmac_f32_e32 v20, v21, v16
	v_fma_f32 v15, -v15, v20, v19
	v_div_fmas_f32 v15, v15, v16, v20
	v_div_fixup_f32 v19, v15, v14, 1.0
	ds_read2st64_b64 v[14:17], v27 offset1:8
	ds_read_b64 v[20:21], v18
	ds_read_b64 v[22:23], v5 offset:16128
	ds_read_b64 v[24:25], v1 offset:16384
	s_waitcnt lgkmcnt(4)
	v_mul_f32_e32 v5, v11, v7
	v_fmac_f32_e32 v5, v6, v10
	v_mul_f32_e32 v26, v19, v5
	s_waitcnt lgkmcnt(3)
	v_mul_f32_e32 v5, v17, v17
	v_fmac_f32_e32 v5, v16, v16
	v_div_scale_f32 v18, s[4:5], v5, v5, 1.0
	v_rcp_f32_e32 v28, v18
	v_mul_f32_e64 v6, v11, -v6
	v_fmac_f32_e32 v6, v7, v10
	v_mul_f32_e32 v6, v6, v19
	v_fma_f32 v7, -v18, v28, 1.0
	v_fmac_f32_e32 v28, v7, v28
	v_div_scale_f32 v7, vcc, 1.0, v5, 1.0
	v_mul_f32_e32 v19, v7, v28
	v_fma_f32 v10, -v18, v19, v7
	v_fmac_f32_e32 v19, v10, v28
	ds_read_b64 v[10:11], v9
	v_fma_f32 v7, -v18, v19, v7
	v_div_fmas_f32 v7, v7, v28, v19
	ds_read_b64 v[28:29], v8
	v_div_fixup_f32 v5, v7, v5, 1.0
	s_waitcnt lgkmcnt(1)
	v_mul_f32_e32 v7, v17, v11
	v_fmac_f32_e32 v7, v10, v16
	v_mul_f32_e32 v30, v5, v7
	v_mul_f32_e64 v7, v17, -v10
	v_fmac_f32_e32 v7, v11, v16
	ds_read2st64_b64 v[16:19], v27 offset0:16 offset1:32
	v_pk_mul_f32 v[32:33], v[6:7], v[12:13] op_sel:[0,1] op_sel_hi:[0,0] neg_lo:[0,1]
	v_mul_f32_e32 v10, v7, v5
	v_pk_fma_f32 v[12:13], v[12:13], v[26:27], v[32:33] op_sel_hi:[1,0,1]
	s_waitcnt lgkmcnt(1)
	v_pk_add_f32 v[12:13], v[28:29], v[12:13] neg_lo:[0,1] neg_hi:[0,1]
	v_pk_mul_f32 v[28:29], v[10:11], v[14:15] op_sel:[0,1] op_sel_hi:[0,0] neg_lo:[0,1]
	v_pk_fma_f32 v[14:15], v[14:15], v[30:31], v[28:29] op_sel_hi:[1,0,1]
	v_pk_add_f32 v[12:13], v[12:13], v[14:15] neg_lo:[0,1] neg_hi:[0,1]
	v_pk_mul_f32 v[14:15], v[6:7], v[22:23] op_sel:[0,1] op_sel_hi:[0,0] neg_lo:[0,1]
	v_pk_fma_f32 v[14:15], v[22:23], v[26:27], v[14:15] op_sel_hi:[1,0,1]
	s_waitcnt lgkmcnt(0)
	v_pk_mul_f32 v[22:23], v[10:11], v[18:19] op_sel:[0,1] op_sel_hi:[0,0] neg_lo:[0,1]
	v_pk_mul_f32 v[10:11], v[10:11], v[16:17] op_sel:[0,1] op_sel_hi:[0,0] neg_hi:[0,1]
	v_max_i32_e32 v5, 64, v0
	v_pk_add_f32 v[14:15], v[24:25], v[14:15] neg_lo:[0,1] neg_hi:[0,1]
	v_pk_fma_f32 v[18:19], v[18:19], v[30:31], v[22:23] op_sel_hi:[1,0,1]
	v_pk_mul_f32 v[6:7], v[6:7], v[20:21] op_sel:[0,1] op_sel_hi:[0,0] neg_hi:[0,1]
	v_pk_fma_f32 v[10:11], v[16:17], v[30:31], v[10:11] op_sel_hi:[1,0,1] neg_lo:[1,0,0] neg_hi:[1,0,0]
	v_lshlrev_b32_e32 v5, 3, v5
	v_pk_add_f32 v[14:15], v[14:15], v[18:19] neg_lo:[0,1] neg_hi:[0,1]
	v_pk_fma_f32 v[6:7], v[20:21], v[26:27], v[6:7] op_sel_hi:[1,0,1] neg_lo:[1,0,0] neg_hi:[1,0,0]
	s_barrier
	ds_write_b64 v8, v[12:13]
	ds_write_b64 v1, v[14:15] offset:16384
	ds_write_b64 v1, v[6:7]
	ds_write_b64 v9, v[10:11]
	s_waitcnt lgkmcnt(0)
	s_barrier
	ds_read2st64_b64 v[10:13], v5 offset0:7 offset1:15
	v_add_u32_e32 v6, 64, v0
	v_cmp_gt_i32_e32 vcc, s8, v6
	v_cndmask_b32_e32 v17, v4, v6, vcc
	ds_read_b64 v[6:7], v1
	s_waitcnt lgkmcnt(1)
	v_mul_f32_e32 v14, v11, v11
	v_fmac_f32_e32 v14, v10, v10
	v_div_scale_f32 v15, s[4:5], v14, v14, 1.0
	v_rcp_f32_e32 v16, v15
	v_lshlrev_b32_e32 v27, 3, v17
	v_add_u32_e32 v18, 0xfffffe00, v5
	v_fma_f32 v19, -v15, v16, 1.0
	v_fmac_f32_e32 v16, v19, v16
	v_div_scale_f32 v19, vcc, 1.0, v14, 1.0
	v_mul_f32_e32 v20, v19, v16
	v_fma_f32 v21, -v15, v20, v19
	v_fmac_f32_e32 v20, v21, v16
	v_fma_f32 v15, -v15, v20, v19
	v_div_fmas_f32 v15, v15, v16, v20
	v_div_fixup_f32 v19, v15, v14, 1.0
	ds_read2st64_b64 v[14:17], v27 offset1:8
	ds_read_b64 v[20:21], v18
	ds_read_b64 v[22:23], v5 offset:15872
	ds_read_b64 v[24:25], v1 offset:16384
	s_waitcnt lgkmcnt(4)
	v_mul_f32_e32 v5, v11, v7
	v_fmac_f32_e32 v5, v6, v10
	v_mul_f32_e32 v26, v19, v5
	s_waitcnt lgkmcnt(3)
	v_mul_f32_e32 v5, v17, v17
	v_fmac_f32_e32 v5, v16, v16
	v_div_scale_f32 v18, s[4:5], v5, v5, 1.0
	v_rcp_f32_e32 v28, v18
	v_mul_f32_e64 v6, v11, -v6
	v_fmac_f32_e32 v6, v7, v10
	v_mul_f32_e32 v6, v6, v19
	v_fma_f32 v7, -v18, v28, 1.0
	v_fmac_f32_e32 v28, v7, v28
	v_div_scale_f32 v7, vcc, 1.0, v5, 1.0
	v_mul_f32_e32 v19, v7, v28
	v_fma_f32 v10, -v18, v19, v7
	v_fmac_f32_e32 v19, v10, v28
	ds_read_b64 v[10:11], v9
	v_fma_f32 v7, -v18, v19, v7
	v_div_fmas_f32 v7, v7, v28, v19
	ds_read_b64 v[28:29], v8
	v_div_fixup_f32 v5, v7, v5, 1.0
	s_waitcnt lgkmcnt(1)
	v_mul_f32_e32 v7, v17, v11
	v_fmac_f32_e32 v7, v10, v16
	v_mul_f32_e32 v30, v5, v7
	v_mul_f32_e64 v7, v17, -v10
	v_fmac_f32_e32 v7, v11, v16
	ds_read2st64_b64 v[16:19], v27 offset0:16 offset1:32
	v_pk_mul_f32 v[32:33], v[6:7], v[12:13] op_sel:[0,1] op_sel_hi:[0,0] neg_lo:[0,1]
	v_mul_f32_e32 v10, v7, v5
	v_pk_fma_f32 v[12:13], v[12:13], v[26:27], v[32:33] op_sel_hi:[1,0,1]
	s_waitcnt lgkmcnt(1)
	v_pk_add_f32 v[12:13], v[28:29], v[12:13] neg_lo:[0,1] neg_hi:[0,1]
	v_pk_mul_f32 v[28:29], v[10:11], v[14:15] op_sel:[0,1] op_sel_hi:[0,0] neg_lo:[0,1]
	v_pk_fma_f32 v[14:15], v[14:15], v[30:31], v[28:29] op_sel_hi:[1,0,1]
	v_pk_add_f32 v[12:13], v[12:13], v[14:15] neg_lo:[0,1] neg_hi:[0,1]
	v_pk_mul_f32 v[14:15], v[6:7], v[22:23] op_sel:[0,1] op_sel_hi:[0,0] neg_lo:[0,1]
	v_pk_fma_f32 v[14:15], v[22:23], v[26:27], v[14:15] op_sel_hi:[1,0,1]
	s_waitcnt lgkmcnt(0)
	v_pk_mul_f32 v[22:23], v[10:11], v[18:19] op_sel:[0,1] op_sel_hi:[0,0] neg_lo:[0,1]
	v_pk_mul_f32 v[10:11], v[10:11], v[16:17] op_sel:[0,1] op_sel_hi:[0,0] neg_hi:[0,1]
	v_max_i32_e32 v5, 0x80, v0
	v_pk_add_f32 v[14:15], v[24:25], v[14:15] neg_lo:[0,1] neg_hi:[0,1]
	v_pk_fma_f32 v[18:19], v[18:19], v[30:31], v[22:23] op_sel_hi:[1,0,1]
	v_pk_mul_f32 v[6:7], v[6:7], v[20:21] op_sel:[0,1] op_sel_hi:[0,0] neg_hi:[0,1]
	v_pk_fma_f32 v[10:11], v[16:17], v[30:31], v[10:11] op_sel_hi:[1,0,1] neg_lo:[1,0,0] neg_hi:[1,0,0]
	v_lshlrev_b32_e32 v16, 3, v5
	v_pk_add_f32 v[14:15], v[14:15], v[18:19] neg_lo:[0,1] neg_hi:[0,1]
	v_pk_fma_f32 v[6:7], v[20:21], v[26:27], v[6:7] op_sel_hi:[1,0,1] neg_lo:[1,0,0] neg_hi:[1,0,0]
	s_barrier
	ds_write_b64 v8, v[12:13]
	ds_write_b64 v1, v[14:15] offset:16384
	ds_write_b64 v1, v[6:7]
	ds_write_b64 v9, v[10:11]
	s_waitcnt lgkmcnt(0)
	s_barrier
	ds_read2st64_b64 v[10:13], v16 offset0:6 offset1:14
	v_add_u32_e32 v5, 0x80, v0
	v_cmp_gt_i32_e32 vcc, s8, v5
	v_cndmask_b32_e32 v4, v4, v5, vcc
	ds_read_b64 v[14:15], v1
	s_waitcnt lgkmcnt(1)
	v_mul_f32_e32 v6, v11, v11
	v_fmac_f32_e32 v6, v10, v10
	v_div_scale_f32 v7, s[4:5], v6, v6, 1.0
	v_rcp_f32_e32 v17, v7
	v_add_u32_e32 v18, 0xfffffc00, v16
	v_lshlrev_b32_e32 v25, 3, v4
	v_fma_f32 v5, -v7, v17, 1.0
	v_fmac_f32_e32 v17, v5, v17
	v_div_scale_f32 v5, vcc, 1.0, v6, 1.0
	v_mul_f32_e32 v19, v5, v17
	v_fma_f32 v20, -v7, v19, v5
	v_fmac_f32_e32 v19, v20, v17
	v_fma_f32 v5, -v7, v19, v5
	v_div_fmas_f32 v5, v5, v17, v19
	v_div_fixup_f32 v17, v5, v6, 1.0
	ds_read2st64_b64 v[4:7], v25 offset1:8
	ds_read_b64 v[18:19], v18
	ds_read_b64 v[20:21], v16 offset:15360
	ds_read_b64 v[22:23], v1 offset:16384
	s_waitcnt lgkmcnt(4)
	v_mul_f32_e32 v16, v11, v15
	v_fmac_f32_e32 v16, v14, v10
	v_mul_f32_e32 v24, v17, v16
	s_waitcnt lgkmcnt(3)
	v_mul_f32_e32 v16, v7, v7
	v_fmac_f32_e32 v16, v6, v6
	v_div_scale_f32 v26, s[4:5], v16, v16, 1.0
	v_rcp_f32_e32 v27, v26
	v_mul_f32_e64 v11, v11, -v14
	v_fmac_f32_e32 v11, v15, v10
	v_mul_f32_e32 v10, v11, v17
	v_fma_f32 v11, -v26, v27, 1.0
	v_fmac_f32_e32 v27, v11, v27
	v_div_scale_f32 v11, vcc, 1.0, v16, 1.0
	v_mul_f32_e32 v17, v11, v27
	v_fma_f32 v14, -v26, v17, v11
	v_fmac_f32_e32 v17, v14, v27
	ds_read_b64 v[14:15], v9
	v_fma_f32 v11, -v26, v17, v11
	v_div_fmas_f32 v11, v11, v27, v17
	ds_read_b64 v[26:27], v8
	v_div_fixup_f32 v11, v11, v16, 1.0
	s_waitcnt lgkmcnt(1)
	v_mul_f32_e32 v16, v7, v15
	v_fmac_f32_e32 v16, v14, v6
	v_mul_f32_e64 v7, v7, -v14
	v_mul_f32_e32 v28, v11, v16
	v_fmac_f32_e32 v7, v15, v6
	ds_read2st64_b64 v[14:17], v25 offset0:16 offset1:32
	v_pk_mul_f32 v[30:31], v[10:11], v[12:13] op_sel:[0,1] op_sel_hi:[0,0] neg_lo:[0,1]
	v_mul_f32_e32 v6, v7, v11
	v_pk_fma_f32 v[12:13], v[12:13], v[24:25], v[30:31] op_sel_hi:[1,0,1]
	s_waitcnt lgkmcnt(1)
	v_pk_add_f32 v[12:13], v[26:27], v[12:13] neg_lo:[0,1] neg_hi:[0,1]
	v_pk_mul_f32 v[26:27], v[6:7], v[4:5] op_sel:[0,1] op_sel_hi:[0,0] neg_lo:[0,1]
	v_pk_fma_f32 v[4:5], v[4:5], v[28:29], v[26:27] op_sel_hi:[1,0,1]
	v_pk_add_f32 v[4:5], v[12:13], v[4:5] neg_lo:[0,1] neg_hi:[0,1]
	v_pk_mul_f32 v[12:13], v[10:11], v[20:21] op_sel:[0,1] op_sel_hi:[0,0] neg_lo:[0,1]
	v_pk_fma_f32 v[12:13], v[20:21], v[24:25], v[12:13] op_sel_hi:[1,0,1]
	s_waitcnt lgkmcnt(0)
	v_pk_mul_f32 v[20:21], v[6:7], v[16:17] op_sel:[0,1] op_sel_hi:[0,0] neg_lo:[0,1]
	v_pk_add_f32 v[12:13], v[22:23], v[12:13] neg_lo:[0,1] neg_hi:[0,1]
	v_pk_fma_f32 v[16:17], v[16:17], v[28:29], v[20:21] op_sel_hi:[1,0,1]
	v_pk_mul_f32 v[10:11], v[10:11], v[18:19] op_sel:[0,1] op_sel_hi:[0,0] neg_hi:[0,1]
	v_pk_mul_f32 v[6:7], v[6:7], v[14:15] op_sel:[0,1] op_sel_hi:[0,0] neg_hi:[0,1]
	v_cmp_gt_u32_e32 vcc, s6, v0
	v_pk_add_f32 v[12:13], v[12:13], v[16:17] neg_lo:[0,1] neg_hi:[0,1]
	v_pk_fma_f32 v[10:11], v[18:19], v[24:25], v[10:11] op_sel_hi:[1,0,1] neg_lo:[1,0,0] neg_hi:[1,0,0]
	v_pk_fma_f32 v[6:7], v[14:15], v[28:29], v[6:7] op_sel_hi:[1,0,1] neg_lo:[1,0,0] neg_hi:[1,0,0]
	s_barrier
	ds_write_b64 v8, v[4:5]
	ds_write_b64 v1, v[12:13] offset:16384
	ds_write_b64 v1, v[10:11]
	ds_write_b64 v9, v[6:7]
	s_waitcnt lgkmcnt(0)
	s_barrier
	s_and_saveexec_b64 s[4:5], vcc
	s_cbranch_execz .LBB58_14
; %bb.9:
	v_or_b32_e32 v6, 0x100, v0
	v_or_b32_e32 v7, 0x4000, v1
	v_cmp_le_i32_e32 vcc, s8, v6
                                        ; implicit-def: $vgpr4_vgpr5
	s_and_saveexec_b64 s[6:7], vcc
	s_xor_b64 s[6:7], exec, s[6:7]
	s_cbranch_execz .LBB58_11
; %bb.10:
	ds_read_b64 v[4:5], v8
	ds_read_b64 v[6:7], v7
	s_waitcnt lgkmcnt(1)
	v_mul_f32_e32 v10, v5, v5
	v_fmac_f32_e32 v10, v4, v4
	v_div_scale_f32 v11, s[8:9], v10, v10, 1.0
	v_rcp_f32_e32 v12, v11
	v_div_scale_f32 v13, vcc, 1.0, v10, 1.0
	s_waitcnt lgkmcnt(0)
	v_pk_mul_f32 v[8:9], v[4:5], v[6:7] op_sel:[1,1] op_sel_hi:[1,0] neg_hi:[0,1]
	v_fma_f32 v14, -v11, v12, 1.0
	v_fmac_f32_e32 v12, v14, v12
	v_mul_f32_e32 v14, v13, v12
	v_fma_f32 v15, -v11, v14, v13
	v_fmac_f32_e32 v14, v15, v12
	v_fma_f32 v11, -v11, v14, v13
	v_div_fmas_f32 v11, v11, v12, v14
	v_div_fixup_f32 v10, v11, v10, 1.0
	v_pk_fma_f32 v[4:5], v[6:7], v[4:5], v[8:9] op_sel_hi:[1,0,1]
	v_pk_mul_f32 v[4:5], v[10:11], v[4:5] op_sel_hi:[0,1]
                                        ; implicit-def: $vgpr8
                                        ; implicit-def: $vgpr9
                                        ; implicit-def: $vgpr7
                                        ; implicit-def: $vgpr6
.LBB58_11:
	s_andn2_saveexec_b64 s[6:7], s[6:7]
	s_cbranch_execz .LBB58_13
; %bb.12:
	ds_read2st64_b64 v[10:13], v8 offset1:4
	ds_read_b64 v[4:5], v9
	ds_read_b64 v[8:9], v1 offset:2048
	s_waitcnt lgkmcnt(2)
	v_pk_mul_f32 v[14:15], v[10:11], v[12:13] op_sel:[1,1] op_sel_hi:[1,0] neg_lo:[0,1]
	v_pk_fma_f32 v[14:15], v[12:13], v[10:11], v[14:15] op_sel_hi:[1,0,1]
	s_waitcnt lgkmcnt(0)
	v_pk_mul_f32 v[16:17], v[8:9], v[4:5] op_sel:[1,1] op_sel_hi:[1,0] neg_lo:[0,1]
	v_pk_fma_f32 v[16:17], v[4:5], v[8:9], v[16:17] op_sel_hi:[1,0,1]
	v_pk_add_f32 v[18:19], v[14:15], v[16:17] neg_lo:[0,1] neg_hi:[0,1]
	v_mul_f32_e32 v0, v19, v19
	v_fmac_f32_e32 v0, v18, v18
	v_div_scale_f32 v20, s[8:9], v0, v0, 1.0
	v_rcp_f32_e32 v21, v20
	ds_read2st64_b64 v[14:17], v7 offset1:4
	v_fma_f32 v7, -v20, v21, 1.0
	v_fmac_f32_e32 v21, v7, v21
	v_div_scale_f32 v7, vcc, 1.0, v0, 1.0
	v_mul_f32_e32 v22, v7, v21
	v_fma_f32 v23, -v20, v22, v7
	v_fmac_f32_e32 v22, v23, v21
	v_fma_f32 v7, -v20, v22, v7
	v_div_fmas_f32 v7, v7, v21, v22
	s_waitcnt lgkmcnt(0)
	v_pk_mul_f32 v[20:21], v[14:15], v[12:13] op_sel:[1,1] op_sel_hi:[1,0] neg_lo:[0,1]
	v_pk_fma_f32 v[12:13], v[12:13], v[14:15], v[20:21] op_sel_hi:[1,0,1]
	v_pk_mul_f32 v[20:21], v[16:17], v[4:5] op_sel:[1,1] op_sel_hi:[1,0] neg_lo:[0,1]
	v_div_fixup_f32 v7, v7, v0, 1.0
	v_fma_f32 v0, 0, v19, v18
	v_fma_f32 v18, v18, 0, -v19
	v_pk_fma_f32 v[4:5], v[4:5], v[16:17], v[20:21] op_sel_hi:[1,0,1]
	v_mul_f32_e32 v18, v18, v7
	v_pk_add_f32 v[4:5], v[12:13], v[4:5] neg_lo:[0,1] neg_hi:[0,1]
	v_mul_f32_e32 v0, v0, v7
	v_pk_mul_f32 v[12:13], v[18:19], v[4:5] op_sel:[0,1] op_sel_hi:[0,0] neg_lo:[0,1]
	v_pk_fma_f32 v[4:5], v[4:5], v[0:1], v[12:13] op_sel_hi:[1,0,1]
	ds_write_b64 v1, v[4:5] offset:12288
	v_pk_mul_f32 v[4:5], v[10:11], v[16:17] op_sel:[1,1] op_sel_hi:[1,0] neg_lo:[0,1]
	v_pk_fma_f32 v[4:5], v[16:17], v[10:11], v[4:5] op_sel_hi:[1,0,1]
	v_pk_mul_f32 v[10:11], v[8:9], v[14:15] op_sel:[1,1] op_sel_hi:[1,0] neg_lo:[0,1]
	v_pk_fma_f32 v[8:9], v[14:15], v[8:9], v[10:11] op_sel_hi:[1,0,1]
	v_pk_add_f32 v[4:5], v[4:5], v[8:9] neg_lo:[0,1] neg_hi:[0,1]
	v_pk_mul_f32 v[8:9], v[18:19], v[4:5] op_sel:[0,1] op_sel_hi:[0,0] neg_lo:[0,1]
	v_pk_fma_f32 v[4:5], v[4:5], v[0:1], v[8:9] op_sel_hi:[1,0,1]
	v_mov_b32_e32 v0, v6
.LBB58_13:
	s_or_b64 exec, exec, s[6:7]
	v_lshlrev_b32_e32 v0, 3, v0
	ds_write_b64 v0, v[4:5] offset:12288
.LBB58_14:
	s_or_b64 exec, exec, s[4:5]
	s_waitcnt lgkmcnt(0)
	s_barrier
	s_and_saveexec_b64 s[4:5], s[0:1]
	s_cbranch_execz .LBB58_16
; %bb.15:
	ds_read_b64 v[0:1], v1 offset:12288
	v_lshlrev_b64 v[2:3], 3, v[2:3]
	v_mov_b32_e32 v4, s3
	v_add_co_u32_e32 v2, vcc, s2, v2
	v_addc_co_u32_e32 v3, vcc, v4, v3, vcc
	s_waitcnt lgkmcnt(0)
	global_store_dwordx2 v[2:3], v[0:1], off
.LBB58_16:
	s_endpgm
	.section	.rodata,"a",@progbits
	.p2align	6, 0x0
	.amdhsa_kernel _ZN9rocsparseL44gtsv_nopivot_strided_batch_pcr_shared_kernelILj512E21rocsparse_complex_numIfEEEviiiPKT0_S5_S5_PS3_
		.amdhsa_group_segment_fixed_size 20480
		.amdhsa_private_segment_fixed_size 0
		.amdhsa_kernarg_size 48
		.amdhsa_user_sgpr_count 6
		.amdhsa_user_sgpr_private_segment_buffer 1
		.amdhsa_user_sgpr_dispatch_ptr 0
		.amdhsa_user_sgpr_queue_ptr 0
		.amdhsa_user_sgpr_kernarg_segment_ptr 1
		.amdhsa_user_sgpr_dispatch_id 0
		.amdhsa_user_sgpr_flat_scratch_init 0
		.amdhsa_user_sgpr_kernarg_preload_length 0
		.amdhsa_user_sgpr_kernarg_preload_offset 0
		.amdhsa_user_sgpr_private_segment_size 0
		.amdhsa_uses_dynamic_stack 0
		.amdhsa_system_sgpr_private_segment_wavefront_offset 0
		.amdhsa_system_sgpr_workgroup_id_x 1
		.amdhsa_system_sgpr_workgroup_id_y 0
		.amdhsa_system_sgpr_workgroup_id_z 0
		.amdhsa_system_sgpr_workgroup_info 0
		.amdhsa_system_vgpr_workitem_id 0
		.amdhsa_next_free_vgpr 34
		.amdhsa_next_free_sgpr 10
		.amdhsa_accum_offset 36
		.amdhsa_reserve_vcc 1
		.amdhsa_reserve_flat_scratch 0
		.amdhsa_float_round_mode_32 0
		.amdhsa_float_round_mode_16_64 0
		.amdhsa_float_denorm_mode_32 3
		.amdhsa_float_denorm_mode_16_64 3
		.amdhsa_dx10_clamp 1
		.amdhsa_ieee_mode 1
		.amdhsa_fp16_overflow 0
		.amdhsa_tg_split 0
		.amdhsa_exception_fp_ieee_invalid_op 0
		.amdhsa_exception_fp_denorm_src 0
		.amdhsa_exception_fp_ieee_div_zero 0
		.amdhsa_exception_fp_ieee_overflow 0
		.amdhsa_exception_fp_ieee_underflow 0
		.amdhsa_exception_fp_ieee_inexact 0
		.amdhsa_exception_int_div_zero 0
	.end_amdhsa_kernel
	.section	.text._ZN9rocsparseL44gtsv_nopivot_strided_batch_pcr_shared_kernelILj512E21rocsparse_complex_numIfEEEviiiPKT0_S5_S5_PS3_,"axG",@progbits,_ZN9rocsparseL44gtsv_nopivot_strided_batch_pcr_shared_kernelILj512E21rocsparse_complex_numIfEEEviiiPKT0_S5_S5_PS3_,comdat
.Lfunc_end58:
	.size	_ZN9rocsparseL44gtsv_nopivot_strided_batch_pcr_shared_kernelILj512E21rocsparse_complex_numIfEEEviiiPKT0_S5_S5_PS3_, .Lfunc_end58-_ZN9rocsparseL44gtsv_nopivot_strided_batch_pcr_shared_kernelILj512E21rocsparse_complex_numIfEEEviiiPKT0_S5_S5_PS3_
                                        ; -- End function
	.section	.AMDGPU.csdata,"",@progbits
; Kernel info:
; codeLenInByte = 5108
; NumSgprs: 14
; NumVgprs: 34
; NumAgprs: 0
; TotalNumVgprs: 34
; ScratchSize: 0
; MemoryBound: 0
; FloatMode: 240
; IeeeMode: 1
; LDSByteSize: 20480 bytes/workgroup (compile time only)
; SGPRBlocks: 1
; VGPRBlocks: 4
; NumSGPRsForWavesPerEU: 14
; NumVGPRsForWavesPerEU: 34
; AccumOffset: 36
; Occupancy: 6
; WaveLimiterHint : 0
; COMPUTE_PGM_RSRC2:SCRATCH_EN: 0
; COMPUTE_PGM_RSRC2:USER_SGPR: 6
; COMPUTE_PGM_RSRC2:TRAP_HANDLER: 0
; COMPUTE_PGM_RSRC2:TGID_X_EN: 1
; COMPUTE_PGM_RSRC2:TGID_Y_EN: 0
; COMPUTE_PGM_RSRC2:TGID_Z_EN: 0
; COMPUTE_PGM_RSRC2:TIDIG_COMP_CNT: 0
; COMPUTE_PGM_RSRC3_GFX90A:ACCUM_OFFSET: 8
; COMPUTE_PGM_RSRC3_GFX90A:TG_SPLIT: 0
	.section	.text._ZN9rocsparseL49gtsv_nopivot_strided_batch_pcr_pow2_stage1_kernelILj256E21rocsparse_complex_numIfEEEviiiiPKT0_S5_S5_S5_PS3_S6_S6_S6_,"axG",@progbits,_ZN9rocsparseL49gtsv_nopivot_strided_batch_pcr_pow2_stage1_kernelILj256E21rocsparse_complex_numIfEEEviiiiPKT0_S5_S5_S5_PS3_S6_S6_S6_,comdat
	.globl	_ZN9rocsparseL49gtsv_nopivot_strided_batch_pcr_pow2_stage1_kernelILj256E21rocsparse_complex_numIfEEEviiiiPKT0_S5_S5_S5_PS3_S6_S6_S6_ ; -- Begin function _ZN9rocsparseL49gtsv_nopivot_strided_batch_pcr_pow2_stage1_kernelILj256E21rocsparse_complex_numIfEEEviiiiPKT0_S5_S5_S5_PS3_S6_S6_S6_
	.p2align	8
	.type	_ZN9rocsparseL49gtsv_nopivot_strided_batch_pcr_pow2_stage1_kernelILj256E21rocsparse_complex_numIfEEEviiiiPKT0_S5_S5_S5_PS3_S6_S6_S6_,@function
_ZN9rocsparseL49gtsv_nopivot_strided_batch_pcr_pow2_stage1_kernelILj256E21rocsparse_complex_numIfEEEviiiiPKT0_S5_S5_S5_PS3_S6_S6_S6_: ; @_ZN9rocsparseL49gtsv_nopivot_strided_batch_pcr_pow2_stage1_kernelILj256E21rocsparse_complex_numIfEEEviiiiPKT0_S5_S5_S5_PS3_S6_S6_S6_
; %bb.0:
	s_load_dwordx2 s[24:25], s[4:5], 0x0
	s_load_dwordx8 s[16:23], s[4:5], 0x30
	s_load_dword s28, s[4:5], 0xc
	s_load_dwordx8 s[8:15], s[4:5], 0x10
	v_lshl_or_b32 v0, s6, 8, v0
	s_waitcnt lgkmcnt(0)
	s_mul_i32 s0, s7, s25
	s_ashr_i32 s1, s0, 31
	s_add_i32 s6, s25, -1
	s_lshl_b64 s[26:27], s[0:1], 3
	s_add_u32 s2, s22, s26
	s_mul_i32 s0, s7, s28
	s_addc_u32 s3, s23, s27
	s_ashr_i32 s1, s0, 31
	s_lshl_b64 s[22:23], s[0:1], 3
	s_add_u32 s14, s14, s22
	s_addc_u32 s15, s15, s23
	s_add_u32 s0, s20, s26
	s_addc_u32 s1, s21, s27
	;; [unrolled: 2-line block ×4, first 2 shown]
	v_subrev_u32_e32 v1, s24, v0
	s_add_u32 s10, s10, s22
	v_max_i32_e32 v2, 0, v1
	v_mov_b32_e32 v3, 0
	s_addc_u32 s11, s11, s23
	v_lshlrev_b64 v[2:3], 3, v[2:3]
	v_mov_b32_e32 v1, s11
	v_add_co_u32_e32 v4, vcc, s10, v2
	v_addc_co_u32_e32 v5, vcc, v1, v3, vcc
	global_load_dwordx2 v[4:5], v[4:5], off
	v_add_u32_e32 v1, s24, v0
	v_mov_b32_e32 v6, s6
	s_add_u32 s6, s16, s26
	v_cmp_gt_i32_e32 vcc, s25, v1
	s_addc_u32 s7, s17, s27
	v_cndmask_b32_e32 v6, v6, v1, vcc
	s_add_u32 s8, s8, s22
	v_ashrrev_i32_e32 v1, 31, v0
	s_addc_u32 s9, s9, s23
	v_lshlrev_b64 v[0:1], 3, v[0:1]
	v_mov_b32_e32 v7, s9
	v_add_co_u32_e32 v8, vcc, s8, v0
	v_addc_co_u32_e32 v9, vcc, v7, v1, vcc
	v_ashrrev_i32_e32 v7, 31, v6
	v_lshlrev_b64 v[6:7], 3, v[6:7]
	v_mov_b32_e32 v11, s11
	v_add_co_u32_e32 v10, vcc, s10, v6
	v_addc_co_u32_e32 v11, vcc, v11, v7, vcc
	global_load_dwordx2 v[10:11], v[10:11], off
	v_mov_b32_e32 v13, s13
	global_load_dwordx2 v[8:9], v[8:9], off
	v_add_co_u32_e32 v12, vcc, s12, v0
	v_addc_co_u32_e32 v13, vcc, v13, v1, vcc
	v_mov_b32_e32 v15, s13
	v_add_co_u32_e32 v14, vcc, s12, v2
	v_addc_co_u32_e32 v15, vcc, v15, v3, vcc
	global_load_dwordx2 v[16:17], v[12:13], off
	global_load_dwordx2 v[18:19], v[14:15], off
	v_mov_b32_e32 v13, s11
	v_add_co_u32_e32 v12, vcc, s10, v0
	v_addc_co_u32_e32 v13, vcc, v13, v1, vcc
	v_mov_b32_e32 v15, s9
	v_add_co_u32_e32 v14, vcc, s8, v6
	v_addc_co_u32_e32 v15, vcc, v15, v7, vcc
	;; [unrolled: 3-line block ×3, first 2 shown]
	v_mov_b32_e32 v23, s15
	v_add_co_u32_e32 v22, vcc, s14, v2
	global_load_dwordx2 v[12:13], v[12:13], off
	v_addc_co_u32_e32 v23, vcc, v23, v3, vcc
	global_load_dwordx2 v[14:15], v[14:15], off
	v_mov_b32_e32 v25, s15
	v_add_co_u32_e32 v24, vcc, s14, v0
	global_load_dwordx2 v[22:23], v[22:23], off
	v_addc_co_u32_e32 v25, vcc, v25, v1, vcc
	global_load_dwordx2 v[26:27], v[24:25], off
	global_load_dwordx2 v[28:29], v[20:21], off
	v_mov_b32_e32 v21, s9
	v_add_co_u32_e32 v2, vcc, s8, v2
	v_addc_co_u32_e32 v3, vcc, v21, v3, vcc
	global_load_dwordx2 v[2:3], v[2:3], off
	v_mov_b32_e32 v25, s13
	v_add_co_u32_e32 v6, vcc, s12, v6
	v_addc_co_u32_e32 v7, vcc, v25, v7, vcc
	global_load_dwordx2 v[6:7], v[6:7], off
	s_waitcnt vmcnt(11)
	v_mul_f32_e32 v20, v5, v5
	v_fmac_f32_e32 v20, v4, v4
	v_div_scale_f32 v21, s[8:9], v20, v20, 1.0
	v_rcp_f32_e32 v24, v21
	v_fma_f32 v25, -v21, v24, 1.0
	v_fmac_f32_e32 v24, v25, v24
	v_div_scale_f32 v25, vcc, 1.0, v20, 1.0
	v_mul_f32_e32 v30, v25, v24
	v_fma_f32 v31, -v21, v30, v25
	v_fmac_f32_e32 v30, v31, v24
	v_fma_f32 v21, -v21, v30, v25
	v_div_fmas_f32 v21, v21, v24, v30
	v_div_fixup_f32 v21, v21, v20, 1.0
	s_waitcnt vmcnt(10)
	v_mul_f32_e32 v24, v11, v11
	v_fmac_f32_e32 v24, v10, v10
	v_div_scale_f32 v25, s[8:9], v24, v24, 1.0
	v_rcp_f32_e32 v30, v25
	s_waitcnt vmcnt(9)
	v_mul_f32_e32 v20, v5, v9
	v_mul_f32_e64 v5, v5, -v8
	v_fmac_f32_e32 v5, v9, v4
	v_fmac_f32_e32 v20, v8, v4
	v_mul_f32_e32 v4, v5, v21
	v_fma_f32 v5, -v25, v30, 1.0
	v_fmac_f32_e32 v30, v5, v30
	v_div_scale_f32 v5, vcc, 1.0, v24, 1.0
	v_mul_f32_e32 v8, v5, v30
	v_fma_f32 v9, -v25, v8, v5
	v_fmac_f32_e32 v8, v9, v30
	v_fma_f32 v5, -v25, v8, v5
	v_div_fmas_f32 v5, v5, v30, v8
	s_waitcnt vmcnt(8)
	v_mul_f32_e32 v8, v11, v17
	v_mul_f32_e64 v9, v11, -v16
	v_div_fixup_f32 v5, v5, v24, 1.0
	v_fmac_f32_e32 v8, v16, v10
	v_fmac_f32_e32 v9, v17, v10
	v_mul_f32_e32 v8, v5, v8
	v_mul_f32_e32 v10, v9, v5
	v_mov_b32_e32 v5, s5
	v_mul_f32_e32 v20, v21, v20
	s_waitcnt vmcnt(7)
	v_pk_mul_f32 v[24:25], v[4:5], v[18:19] op_sel:[0,1] op_sel_hi:[0,0] neg_lo:[0,1]
	v_pk_fma_f32 v[18:19], v[18:19], v[20:21], v[24:25] op_sel_hi:[1,0,1]
	v_add_co_u32_e32 v16, vcc, s4, v0
	s_waitcnt vmcnt(6)
	v_pk_add_f32 v[12:13], v[12:13], v[18:19] neg_lo:[0,1] neg_hi:[0,1]
	v_addc_co_u32_e32 v17, vcc, v5, v1, vcc
	s_waitcnt vmcnt(5)
	v_pk_mul_f32 v[18:19], v[10:11], v[14:15] op_sel:[0,1] op_sel_hi:[0,0] neg_lo:[0,1]
	v_pk_fma_f32 v[14:15], v[14:15], v[8:9], v[18:19] op_sel_hi:[1,0,1]
	v_mov_b32_e32 v5, s3
	v_pk_add_f32 v[12:13], v[12:13], v[14:15] neg_lo:[0,1] neg_hi:[0,1]
	s_waitcnt vmcnt(4)
	v_pk_mul_f32 v[14:15], v[4:5], v[22:23] op_sel:[0,1] op_sel_hi:[0,0] neg_lo:[0,1]
	global_store_dwordx2 v[16:17], v[12:13], off
	v_pk_fma_f32 v[14:15], v[22:23], v[20:21], v[14:15] op_sel_hi:[1,0,1]
	s_waitcnt vmcnt(3)
	v_pk_mul_f32 v[16:17], v[10:11], v[28:29] op_sel:[0,1] op_sel_hi:[0,0] neg_lo:[0,1]
	v_add_co_u32_e32 v12, vcc, s2, v0
	v_pk_add_f32 v[14:15], v[26:27], v[14:15] neg_lo:[0,1] neg_hi:[0,1]
	v_pk_fma_f32 v[16:17], v[28:29], v[8:9], v[16:17] op_sel_hi:[1,0,1]
	v_addc_co_u32_e32 v13, vcc, v5, v1, vcc
	v_pk_add_f32 v[14:15], v[14:15], v[16:17] neg_lo:[0,1] neg_hi:[0,1]
	global_store_dwordx2 v[12:13], v[14:15], off
	v_mov_b32_e32 v5, s7
	v_add_co_u32_e32 v12, vcc, s6, v0
	v_addc_co_u32_e32 v13, vcc, v5, v1, vcc
	s_waitcnt vmcnt(3)
	v_pk_mul_f32 v[4:5], v[4:5], v[2:3] op_sel:[0,1] op_sel_hi:[0,0] neg_hi:[0,1]
	v_pk_fma_f32 v[2:3], v[2:3], v[20:21], v[4:5] op_sel_hi:[1,0,1] neg_lo:[1,0,0] neg_hi:[1,0,0]
	global_store_dwordx2 v[12:13], v[2:3], off
	v_mov_b32_e32 v2, s1
	v_add_co_u32_e32 v0, vcc, s0, v0
	v_addc_co_u32_e32 v1, vcc, v2, v1, vcc
	s_waitcnt vmcnt(3)
	v_pk_mul_f32 v[2:3], v[10:11], v[6:7] op_sel:[0,1] op_sel_hi:[0,0] neg_hi:[0,1]
	v_pk_fma_f32 v[2:3], v[6:7], v[8:9], v[2:3] op_sel_hi:[1,0,1] neg_lo:[1,0,0] neg_hi:[1,0,0]
	global_store_dwordx2 v[0:1], v[2:3], off
	s_endpgm
	.section	.rodata,"a",@progbits
	.p2align	6, 0x0
	.amdhsa_kernel _ZN9rocsparseL49gtsv_nopivot_strided_batch_pcr_pow2_stage1_kernelILj256E21rocsparse_complex_numIfEEEviiiiPKT0_S5_S5_S5_PS3_S6_S6_S6_
		.amdhsa_group_segment_fixed_size 0
		.amdhsa_private_segment_fixed_size 0
		.amdhsa_kernarg_size 80
		.amdhsa_user_sgpr_count 6
		.amdhsa_user_sgpr_private_segment_buffer 1
		.amdhsa_user_sgpr_dispatch_ptr 0
		.amdhsa_user_sgpr_queue_ptr 0
		.amdhsa_user_sgpr_kernarg_segment_ptr 1
		.amdhsa_user_sgpr_dispatch_id 0
		.amdhsa_user_sgpr_flat_scratch_init 0
		.amdhsa_user_sgpr_kernarg_preload_length 0
		.amdhsa_user_sgpr_kernarg_preload_offset 0
		.amdhsa_user_sgpr_private_segment_size 0
		.amdhsa_uses_dynamic_stack 0
		.amdhsa_system_sgpr_private_segment_wavefront_offset 0
		.amdhsa_system_sgpr_workgroup_id_x 1
		.amdhsa_system_sgpr_workgroup_id_y 1
		.amdhsa_system_sgpr_workgroup_id_z 0
		.amdhsa_system_sgpr_workgroup_info 0
		.amdhsa_system_vgpr_workitem_id 0
		.amdhsa_next_free_vgpr 32
		.amdhsa_next_free_sgpr 29
		.amdhsa_accum_offset 32
		.amdhsa_reserve_vcc 1
		.amdhsa_reserve_flat_scratch 0
		.amdhsa_float_round_mode_32 0
		.amdhsa_float_round_mode_16_64 0
		.amdhsa_float_denorm_mode_32 3
		.amdhsa_float_denorm_mode_16_64 3
		.amdhsa_dx10_clamp 1
		.amdhsa_ieee_mode 1
		.amdhsa_fp16_overflow 0
		.amdhsa_tg_split 0
		.amdhsa_exception_fp_ieee_invalid_op 0
		.amdhsa_exception_fp_denorm_src 0
		.amdhsa_exception_fp_ieee_div_zero 0
		.amdhsa_exception_fp_ieee_overflow 0
		.amdhsa_exception_fp_ieee_underflow 0
		.amdhsa_exception_fp_ieee_inexact 0
		.amdhsa_exception_int_div_zero 0
	.end_amdhsa_kernel
	.section	.text._ZN9rocsparseL49gtsv_nopivot_strided_batch_pcr_pow2_stage1_kernelILj256E21rocsparse_complex_numIfEEEviiiiPKT0_S5_S5_S5_PS3_S6_S6_S6_,"axG",@progbits,_ZN9rocsparseL49gtsv_nopivot_strided_batch_pcr_pow2_stage1_kernelILj256E21rocsparse_complex_numIfEEEviiiiPKT0_S5_S5_S5_PS3_S6_S6_S6_,comdat
.Lfunc_end59:
	.size	_ZN9rocsparseL49gtsv_nopivot_strided_batch_pcr_pow2_stage1_kernelILj256E21rocsparse_complex_numIfEEEviiiiPKT0_S5_S5_S5_PS3_S6_S6_S6_, .Lfunc_end59-_ZN9rocsparseL49gtsv_nopivot_strided_batch_pcr_pow2_stage1_kernelILj256E21rocsparse_complex_numIfEEEviiiiPKT0_S5_S5_S5_PS3_S6_S6_S6_
                                        ; -- End function
	.section	.AMDGPU.csdata,"",@progbits
; Kernel info:
; codeLenInByte = 908
; NumSgprs: 33
; NumVgprs: 32
; NumAgprs: 0
; TotalNumVgprs: 32
; ScratchSize: 0
; MemoryBound: 0
; FloatMode: 240
; IeeeMode: 1
; LDSByteSize: 0 bytes/workgroup (compile time only)
; SGPRBlocks: 4
; VGPRBlocks: 3
; NumSGPRsForWavesPerEU: 33
; NumVGPRsForWavesPerEU: 32
; AccumOffset: 32
; Occupancy: 8
; WaveLimiterHint : 0
; COMPUTE_PGM_RSRC2:SCRATCH_EN: 0
; COMPUTE_PGM_RSRC2:USER_SGPR: 6
; COMPUTE_PGM_RSRC2:TRAP_HANDLER: 0
; COMPUTE_PGM_RSRC2:TGID_X_EN: 1
; COMPUTE_PGM_RSRC2:TGID_Y_EN: 1
; COMPUTE_PGM_RSRC2:TGID_Z_EN: 0
; COMPUTE_PGM_RSRC2:TIDIG_COMP_CNT: 0
; COMPUTE_PGM_RSRC3_GFX90A:ACCUM_OFFSET: 7
; COMPUTE_PGM_RSRC3_GFX90A:TG_SPLIT: 0
	.section	.text._ZN9rocsparseL48gtsv_nopivot_strided_batch_cr_pow2_stage2_kernelILj256E21rocsparse_complex_numIfEEEviiiPKT0_S5_S5_S5_PS3_,"axG",@progbits,_ZN9rocsparseL48gtsv_nopivot_strided_batch_cr_pow2_stage2_kernelILj256E21rocsparse_complex_numIfEEEviiiPKT0_S5_S5_S5_PS3_,comdat
	.globl	_ZN9rocsparseL48gtsv_nopivot_strided_batch_cr_pow2_stage2_kernelILj256E21rocsparse_complex_numIfEEEviiiPKT0_S5_S5_S5_PS3_ ; -- Begin function _ZN9rocsparseL48gtsv_nopivot_strided_batch_cr_pow2_stage2_kernelILj256E21rocsparse_complex_numIfEEEviiiPKT0_S5_S5_S5_PS3_
	.p2align	8
	.type	_ZN9rocsparseL48gtsv_nopivot_strided_batch_cr_pow2_stage2_kernelILj256E21rocsparse_complex_numIfEEEviiiPKT0_S5_S5_S5_PS3_,@function
_ZN9rocsparseL48gtsv_nopivot_strided_batch_cr_pow2_stage2_kernelILj256E21rocsparse_complex_numIfEEEviiiPKT0_S5_S5_S5_PS3_: ; @_ZN9rocsparseL48gtsv_nopivot_strided_batch_cr_pow2_stage2_kernelILj256E21rocsparse_complex_numIfEEEviiiPKT0_S5_S5_S5_PS3_
; %bb.0:
	s_load_dword s0, s[4:5], 0x38
	s_load_dword s1, s[4:5], 0x0
	s_load_dwordx8 s[8:15], s[4:5], 0x10
	v_mov_b32_e32 v3, 0
	s_movk_i32 s2, 0x100
	s_waitcnt lgkmcnt(0)
	v_mul_lo_u32 v1, s0, v0
	v_add_u32_e32 v4, s6, v1
	s_mul_i32 s1, s7, s1
	v_add_u32_e32 v2, s1, v4
	v_lshlrev_b64 v[6:7], 3, v[2:3]
	v_mov_b32_e32 v1, s9
	v_add_co_u32_e32 v8, vcc, s8, v6
	v_addc_co_u32_e32 v9, vcc, v1, v7, vcc
	v_mov_b32_e32 v17, s11
	v_add_co_u32_e32 v10, vcc, s10, v6
	v_addc_co_u32_e32 v11, vcc, v17, v7, vcc
	;; [unrolled: 3-line block ×3, first 2 shown]
	v_lshl_add_u32 v5, s0, 8, v4
	v_mov_b32_e32 v20, s15
	v_add_co_u32_e32 v6, vcc, s14, v6
	v_add_u32_e32 v2, s1, v5
	v_addc_co_u32_e32 v7, vcc, v20, v7, vcc
	v_lshlrev_b64 v[2:3], 3, v[2:3]
	v_add_co_u32_e32 v14, vcc, s8, v2
	v_addc_co_u32_e32 v15, vcc, v1, v3, vcc
	v_add_co_u32_e32 v16, vcc, s10, v2
	v_addc_co_u32_e32 v17, vcc, v17, v3, vcc
	v_add_co_u32_e32 v18, vcc, s12, v2
	global_load_dwordx2 v[8:9], v[8:9], off
	v_addc_co_u32_e32 v19, vcc, v19, v3, vcc
	global_load_dwordx2 v[14:15], v[14:15], off
	v_add_co_u32_e32 v2, vcc, s14, v2
	global_load_dwordx2 v[10:11], v[10:11], off
	v_addc_co_u32_e32 v3, vcc, v20, v3, vcc
	global_load_dwordx2 v[16:17], v[16:17], off
	s_mov_b32 s0, 0
	global_load_dwordx2 v[12:13], v[12:13], off
	s_mov_b32 s1, s0
	global_load_dwordx2 v[18:19], v[18:19], off
	v_lshlrev_b32_e32 v1, 3, v0
	global_load_dwordx2 v[6:7], v[6:7], off
	v_pk_mov_b32 v[22:23], s[0:1], s[0:1] op_sel:[0,1]
	global_load_dwordx2 v[20:21], v[2:3], off
	v_add_u32_e32 v2, 1, v0
	v_cmp_gt_u32_e64 s[0:1], s2, v0
	ds_write2st64_b64 v1, v[22:23], v[22:23] offset0:24 offset1:28
	s_waitcnt vmcnt(6)
	ds_write2st64_b64 v1, v[8:9], v[14:15] offset1:4
	s_waitcnt vmcnt(4)
	ds_write2st64_b64 v1, v[10:11], v[16:17] offset0:8 offset1:12
	s_waitcnt vmcnt(2)
	ds_write2st64_b64 v1, v[12:13], v[18:19] offset0:16 offset1:20
	;; [unrolled: 2-line block ×3, first 2 shown]
	s_waitcnt lgkmcnt(0)
	s_barrier
	s_and_saveexec_b64 s[2:3], s[0:1]
	s_cbranch_execz .LBB60_2
; %bb.1:
	v_lshlrev_b32_e32 v3, 4, v2
	v_add_u32_e32 v6, 0x800, v3
	ds_read2_b64 v[6:9], v6 offset0:254 offset1:255
	v_lshlrev_b32_e32 v10, 1, v2
	v_min_u32_e32 v10, 0x1ff, v10
	v_add_u32_e32 v25, -8, v3
	v_lshlrev_b32_e32 v27, 3, v10
	s_waitcnt lgkmcnt(0)
	v_mul_f32_e32 v11, v7, v7
	v_fmac_f32_e32 v11, v6, v6
	v_div_scale_f32 v12, s[8:9], v11, v11, 1.0
	v_rcp_f32_e32 v13, v12
	v_div_scale_f32 v14, vcc, 1.0, v11, 1.0
	v_add_u32_e32 v16, -16, v3
	v_fma_f32 v15, -v12, v13, 1.0
	v_fmac_f32_e32 v13, v15, v13
	v_mul_f32_e32 v15, v14, v13
	v_fma_f32 v17, -v12, v15, v14
	v_fmac_f32_e32 v15, v17, v13
	v_fma_f32 v12, -v12, v15, v14
	v_div_fmas_f32 v12, v12, v13, v15
	ds_read_b64 v[14:15], v25
	v_div_fixup_f32 v17, v12, v11, 1.0
	ds_read2st64_b64 v[10:13], v27 offset1:8
	ds_read_b64 v[22:23], v16
	s_waitcnt lgkmcnt(2)
	v_mul_f32_e32 v16, v7, v15
	s_waitcnt lgkmcnt(1)
	v_mul_f32_e32 v18, v13, v13
	v_fmac_f32_e32 v16, v14, v6
	v_fmac_f32_e32 v18, v12, v12
	v_mul_f32_e32 v24, v17, v16
	v_div_scale_f32 v16, s[8:9], v18, v18, 1.0
	v_rcp_f32_e32 v19, v16
	v_mul_f32_e64 v7, v7, -v14
	v_fmac_f32_e32 v7, v15, v6
	v_mul_f32_e32 v26, v7, v17
	v_fma_f32 v6, -v16, v19, 1.0
	v_fmac_f32_e32 v19, v6, v19
	v_div_scale_f32 v6, vcc, 1.0, v18, 1.0
	v_mul_f32_e32 v7, v6, v19
	v_fma_f32 v14, -v16, v7, v6
	v_fmac_f32_e32 v7, v14, v19
	v_fma_f32 v6, -v16, v7, v6
	ds_read_b128 v[14:17], v3 offset:8176
	v_div_fmas_f32 v6, v6, v19, v7
	v_div_fixup_f32 v6, v6, v18, 1.0
	ds_read_b128 v[18:21], v3 offset:16368
	s_waitcnt lgkmcnt(1)
	v_mul_f32_e32 v7, v13, v17
	v_fmac_f32_e32 v7, v16, v12
	v_mul_f32_e32 v28, v6, v7
	v_mul_f32_e64 v7, v13, -v16
	v_fmac_f32_e32 v7, v17, v12
	v_mul_f32_e32 v12, v7, v6
	v_pk_mul_f32 v[6:7], v[26:27], v[14:15] op_sel:[0,1] op_sel_hi:[0,0] neg_lo:[0,1]
	v_pk_fma_f32 v[6:7], v[14:15], v[24:25], v[6:7] op_sel_hi:[1,0,1]
	v_pk_add_f32 v[14:15], v[8:9], v[6:7] neg_lo:[0,1] neg_hi:[0,1]
	v_pk_mul_f32 v[6:7], v[12:13], v[10:11] op_sel:[0,1] op_sel_hi:[0,0] neg_lo:[0,1]
	v_pk_fma_f32 v[10:11], v[10:11], v[28:29], v[6:7] op_sel_hi:[1,0,1]
	ds_read2st64_b64 v[6:9], v27 offset0:16 offset1:32
	v_pk_add_f32 v[10:11], v[14:15], v[10:11] neg_lo:[0,1] neg_hi:[0,1]
	s_waitcnt lgkmcnt(1)
	v_pk_mul_f32 v[14:15], v[26:27], v[18:19] op_sel:[0,1] op_sel_hi:[0,0] neg_lo:[0,1]
	v_pk_fma_f32 v[14:15], v[18:19], v[24:25], v[14:15] op_sel_hi:[1,0,1]
	v_pk_add_f32 v[14:15], v[20:21], v[14:15] neg_lo:[0,1] neg_hi:[0,1]
	s_waitcnt lgkmcnt(0)
	v_pk_mul_f32 v[16:17], v[12:13], v[8:9] op_sel:[0,1] op_sel_hi:[0,0] neg_lo:[0,1]
	v_pk_fma_f32 v[8:9], v[8:9], v[28:29], v[16:17] op_sel_hi:[1,0,1]
	v_pk_add_f32 v[8:9], v[14:15], v[8:9] neg_lo:[0,1] neg_hi:[0,1]
	ds_write_b64 v3, v[8:9] offset:16376
	v_pk_mul_f32 v[8:9], v[26:27], v[22:23] op_sel:[0,1] op_sel_hi:[0,0] neg_hi:[0,1]
	v_pk_fma_f32 v[8:9], v[22:23], v[24:25], v[8:9] op_sel_hi:[1,0,1] neg_lo:[1,0,0] neg_hi:[1,0,0]
	ds_write_b64 v25, v[8:9]
	v_pk_mul_f32 v[8:9], v[12:13], v[6:7] op_sel:[0,1] op_sel_hi:[0,0] neg_hi:[0,1]
	v_pk_fma_f32 v[6:7], v[6:7], v[28:29], v[8:9] op_sel_hi:[1,0,1] neg_lo:[1,0,0] neg_hi:[1,0,0]
	v_add_u32_e32 v3, 0x1f8, v3
	ds_write2st64_b64 v3, v[10:11], v[6:7] offset0:7 offset1:15
.LBB60_2:
	s_or_b64 exec, exec, s[2:3]
	s_movk_i32 s2, 0x80
	v_cmp_gt_u32_e64 s[2:3], s2, v0
	s_waitcnt lgkmcnt(0)
	s_barrier
	s_and_saveexec_b64 s[8:9], s[2:3]
	s_cbranch_execz .LBB60_4
; %bb.3:
	v_lshlrev_b32_e32 v3, 5, v2
	v_add_u32_e32 v6, 0x800, v3
	ds_read2_b64 v[6:9], v6 offset0:253 offset1:255
	v_lshl_or_b32 v10, v2, 2, 1
	v_min_u32_e32 v10, 0x1ff, v10
	v_add_u32_e32 v21, -8, v3
	v_lshlrev_b32_e32 v23, 3, v10
	s_waitcnt lgkmcnt(0)
	v_mul_f32_e32 v11, v7, v7
	v_fmac_f32_e32 v11, v6, v6
	v_div_scale_f32 v12, s[10:11], v11, v11, 1.0
	v_rcp_f32_e32 v13, v12
	v_div_scale_f32 v14, vcc, 1.0, v11, 1.0
	v_subrev_u32_e32 v16, 24, v3
	v_fma_f32 v15, -v12, v13, 1.0
	v_fmac_f32_e32 v13, v15, v13
	v_mul_f32_e32 v17, v14, v13
	v_fma_f32 v15, -v12, v17, v14
	v_fmac_f32_e32 v17, v15, v13
	v_fma_f32 v12, -v12, v17, v14
	ds_read_b64 v[14:15], v21
	ds_read_b64 v[18:19], v16
	v_div_fmas_f32 v12, v12, v13, v17
	v_div_fixup_f32 v17, v12, v11, 1.0
	ds_read2st64_b64 v[10:13], v23 offset1:8
	s_waitcnt lgkmcnt(2)
	v_mul_f32_e32 v16, v7, v15
	v_mul_f32_e64 v7, v7, -v14
	v_fmac_f32_e32 v16, v14, v6
	v_fmac_f32_e32 v7, v15, v6
	s_waitcnt lgkmcnt(0)
	v_mul_f32_e32 v6, v13, v13
	v_fmac_f32_e32 v6, v12, v12
	v_div_scale_f32 v24, s[10:11], v6, v6, 1.0
	v_rcp_f32_e32 v25, v24
	v_mul_f32_e32 v22, v7, v17
	v_add_u32_e32 v7, 0x1800, v3
	v_mul_f32_e32 v20, v17, v16
	ds_read2_b64 v[14:17], v7 offset0:253 offset1:255
	v_fma_f32 v7, -v24, v25, 1.0
	v_fmac_f32_e32 v25, v7, v25
	v_div_scale_f32 v7, vcc, 1.0, v6, 1.0
	v_mul_f32_e32 v26, v7, v25
	v_fma_f32 v27, -v24, v26, v7
	v_fmac_f32_e32 v26, v27, v25
	v_fma_f32 v7, -v24, v26, v7
	v_div_fmas_f32 v7, v7, v25, v26
	v_div_fixup_f32 v6, v7, v6, 1.0
	s_waitcnt lgkmcnt(0)
	v_mul_f32_e32 v7, v13, v17
	v_fmac_f32_e32 v7, v16, v12
	v_mul_f32_e32 v24, v6, v7
	v_mul_f32_e64 v7, v13, -v16
	v_fmac_f32_e32 v7, v17, v12
	v_mul_f32_e32 v16, v7, v6
	v_pk_mul_f32 v[6:7], v[22:23], v[14:15] op_sel:[0,1] op_sel_hi:[0,0] neg_lo:[0,1]
	v_pk_fma_f32 v[6:7], v[14:15], v[20:21], v[6:7] op_sel_hi:[1,0,1]
	v_pk_add_f32 v[14:15], v[8:9], v[6:7] neg_lo:[0,1] neg_hi:[0,1]
	v_add_u32_e32 v6, 0x3800, v3
	ds_read2_b64 v[6:9], v6 offset0:253 offset1:255
	v_pk_mul_f32 v[12:13], v[16:17], v[10:11] op_sel:[0,1] op_sel_hi:[0,0] neg_lo:[0,1]
	v_pk_fma_f32 v[26:27], v[10:11], v[24:25], v[12:13] op_sel_hi:[1,0,1]
	ds_read2st64_b64 v[10:13], v23 offset0:16 offset1:32
	v_pk_add_f32 v[14:15], v[14:15], v[26:27] neg_lo:[0,1] neg_hi:[0,1]
	s_waitcnt lgkmcnt(1)
	v_pk_mul_f32 v[26:27], v[22:23], v[6:7] op_sel:[0,1] op_sel_hi:[0,0] neg_lo:[0,1]
	v_pk_fma_f32 v[6:7], v[6:7], v[20:21], v[26:27] op_sel_hi:[1,0,1]
	v_pk_add_f32 v[6:7], v[8:9], v[6:7] neg_lo:[0,1] neg_hi:[0,1]
	s_waitcnt lgkmcnt(0)
	v_pk_mul_f32 v[8:9], v[16:17], v[12:13] op_sel:[0,1] op_sel_hi:[0,0] neg_lo:[0,1]
	v_pk_fma_f32 v[8:9], v[12:13], v[24:25], v[8:9] op_sel_hi:[1,0,1]
	v_pk_add_f32 v[6:7], v[6:7], v[8:9] neg_lo:[0,1] neg_hi:[0,1]
	ds_write_b64 v3, v[6:7] offset:16376
	v_pk_mul_f32 v[6:7], v[22:23], v[18:19] op_sel:[0,1] op_sel_hi:[0,0] neg_hi:[0,1]
	v_pk_fma_f32 v[6:7], v[18:19], v[20:21], v[6:7] op_sel_hi:[1,0,1] neg_lo:[1,0,0] neg_hi:[1,0,0]
	ds_write_b64 v21, v[6:7]
	v_pk_mul_f32 v[6:7], v[16:17], v[10:11] op_sel:[0,1] op_sel_hi:[0,0] neg_hi:[0,1]
	v_pk_fma_f32 v[6:7], v[10:11], v[24:25], v[6:7] op_sel_hi:[1,0,1] neg_lo:[1,0,0] neg_hi:[1,0,0]
	v_add_u32_e32 v3, 0x1f8, v3
	ds_write2st64_b64 v3, v[14:15], v[6:7] offset0:7 offset1:15
.LBB60_4:
	s_or_b64 exec, exec, s[8:9]
	v_cmp_gt_u32_e64 s[20:21], 64, v0
	s_waitcnt lgkmcnt(0)
	s_barrier
	s_and_saveexec_b64 s[8:9], s[20:21]
	s_cbranch_execz .LBB60_6
; %bb.5:
	v_lshlrev_b32_e32 v3, 6, v2
	v_add_u32_e32 v6, 0x800, v3
	ds_read2_b64 v[6:9], v6 offset0:251 offset1:255
	v_lshl_or_b32 v10, v2, 3, 3
	v_min_u32_e32 v10, 0x1ff, v10
	v_add_u32_e32 v21, -8, v3
	v_lshlrev_b32_e32 v23, 3, v10
	s_waitcnt lgkmcnt(0)
	v_mul_f32_e32 v11, v7, v7
	v_fmac_f32_e32 v11, v6, v6
	v_div_scale_f32 v12, s[10:11], v11, v11, 1.0
	v_rcp_f32_e32 v13, v12
	v_div_scale_f32 v14, vcc, 1.0, v11, 1.0
	v_subrev_u32_e32 v16, 40, v3
	v_fma_f32 v15, -v12, v13, 1.0
	v_fmac_f32_e32 v13, v15, v13
	v_mul_f32_e32 v17, v14, v13
	v_fma_f32 v15, -v12, v17, v14
	v_fmac_f32_e32 v17, v15, v13
	v_fma_f32 v12, -v12, v17, v14
	ds_read_b64 v[14:15], v21
	ds_read_b64 v[18:19], v16
	v_div_fmas_f32 v12, v12, v13, v17
	v_div_fixup_f32 v17, v12, v11, 1.0
	ds_read2st64_b64 v[10:13], v23 offset1:8
	s_waitcnt lgkmcnt(2)
	v_mul_f32_e32 v16, v7, v15
	v_mul_f32_e64 v7, v7, -v14
	v_fmac_f32_e32 v16, v14, v6
	v_fmac_f32_e32 v7, v15, v6
	s_waitcnt lgkmcnt(0)
	v_mul_f32_e32 v6, v13, v13
	v_fmac_f32_e32 v6, v12, v12
	v_div_scale_f32 v24, s[10:11], v6, v6, 1.0
	v_rcp_f32_e32 v25, v24
	v_mul_f32_e32 v22, v7, v17
	v_add_u32_e32 v7, 0x1800, v3
	v_mul_f32_e32 v20, v17, v16
	ds_read2_b64 v[14:17], v7 offset0:251 offset1:255
	v_fma_f32 v7, -v24, v25, 1.0
	v_fmac_f32_e32 v25, v7, v25
	v_div_scale_f32 v7, vcc, 1.0, v6, 1.0
	v_mul_f32_e32 v26, v7, v25
	v_fma_f32 v27, -v24, v26, v7
	v_fmac_f32_e32 v26, v27, v25
	v_fma_f32 v7, -v24, v26, v7
	v_div_fmas_f32 v7, v7, v25, v26
	v_div_fixup_f32 v6, v7, v6, 1.0
	s_waitcnt lgkmcnt(0)
	v_mul_f32_e32 v7, v13, v17
	v_fmac_f32_e32 v7, v16, v12
	v_mul_f32_e32 v24, v6, v7
	v_mul_f32_e64 v7, v13, -v16
	v_fmac_f32_e32 v7, v17, v12
	v_mul_f32_e32 v16, v7, v6
	v_pk_mul_f32 v[6:7], v[22:23], v[14:15] op_sel:[0,1] op_sel_hi:[0,0] neg_lo:[0,1]
	v_pk_fma_f32 v[6:7], v[14:15], v[20:21], v[6:7] op_sel_hi:[1,0,1]
	v_pk_add_f32 v[14:15], v[8:9], v[6:7] neg_lo:[0,1] neg_hi:[0,1]
	v_add_u32_e32 v6, 0x3800, v3
	ds_read2_b64 v[6:9], v6 offset0:251 offset1:255
	v_pk_mul_f32 v[12:13], v[16:17], v[10:11] op_sel:[0,1] op_sel_hi:[0,0] neg_lo:[0,1]
	v_pk_fma_f32 v[26:27], v[10:11], v[24:25], v[12:13] op_sel_hi:[1,0,1]
	ds_read2st64_b64 v[10:13], v23 offset0:16 offset1:32
	v_pk_add_f32 v[14:15], v[14:15], v[26:27] neg_lo:[0,1] neg_hi:[0,1]
	s_waitcnt lgkmcnt(1)
	v_pk_mul_f32 v[26:27], v[22:23], v[6:7] op_sel:[0,1] op_sel_hi:[0,0] neg_lo:[0,1]
	v_pk_fma_f32 v[6:7], v[6:7], v[20:21], v[26:27] op_sel_hi:[1,0,1]
	v_pk_add_f32 v[6:7], v[8:9], v[6:7] neg_lo:[0,1] neg_hi:[0,1]
	s_waitcnt lgkmcnt(0)
	v_pk_mul_f32 v[8:9], v[16:17], v[12:13] op_sel:[0,1] op_sel_hi:[0,0] neg_lo:[0,1]
	v_pk_fma_f32 v[8:9], v[12:13], v[24:25], v[8:9] op_sel_hi:[1,0,1]
	v_pk_add_f32 v[6:7], v[6:7], v[8:9] neg_lo:[0,1] neg_hi:[0,1]
	ds_write_b64 v3, v[6:7] offset:16376
	v_pk_mul_f32 v[6:7], v[22:23], v[18:19] op_sel:[0,1] op_sel_hi:[0,0] neg_hi:[0,1]
	v_pk_fma_f32 v[6:7], v[18:19], v[20:21], v[6:7] op_sel_hi:[1,0,1] neg_lo:[1,0,0] neg_hi:[1,0,0]
	ds_write_b64 v21, v[6:7]
	v_pk_mul_f32 v[6:7], v[16:17], v[10:11] op_sel:[0,1] op_sel_hi:[0,0] neg_hi:[0,1]
	v_pk_fma_f32 v[6:7], v[10:11], v[24:25], v[6:7] op_sel_hi:[1,0,1] neg_lo:[1,0,0] neg_hi:[1,0,0]
	v_add_u32_e32 v3, 0x1f8, v3
	ds_write2st64_b64 v3, v[14:15], v[6:7] offset0:7 offset1:15
.LBB60_6:
	s_or_b64 exec, exec, s[8:9]
	v_cmp_gt_u32_e64 s[8:9], 32, v0
	s_waitcnt lgkmcnt(0)
	s_barrier
	s_and_saveexec_b64 s[10:11], s[8:9]
	s_cbranch_execz .LBB60_8
; %bb.7:
	v_lshlrev_b32_e32 v3, 7, v2
	v_add_u32_e32 v6, 0x800, v3
	ds_read2_b64 v[6:9], v6 offset0:247 offset1:255
	v_lshl_or_b32 v10, v2, 4, 7
	v_min_u32_e32 v10, 0x1ff, v10
	v_add_u32_e32 v21, -8, v3
	v_lshlrev_b32_e32 v23, 3, v10
	s_waitcnt lgkmcnt(0)
	v_mul_f32_e32 v11, v7, v7
	v_fmac_f32_e32 v11, v6, v6
	v_div_scale_f32 v12, s[12:13], v11, v11, 1.0
	v_rcp_f32_e32 v13, v12
	v_div_scale_f32 v14, vcc, 1.0, v11, 1.0
	v_add_u32_e32 v16, 0xffffffb8, v3
	v_fma_f32 v15, -v12, v13, 1.0
	v_fmac_f32_e32 v13, v15, v13
	v_mul_f32_e32 v17, v14, v13
	v_fma_f32 v15, -v12, v17, v14
	v_fmac_f32_e32 v17, v15, v13
	v_fma_f32 v12, -v12, v17, v14
	ds_read_b64 v[14:15], v21
	ds_read_b64 v[18:19], v16
	v_div_fmas_f32 v12, v12, v13, v17
	v_div_fixup_f32 v17, v12, v11, 1.0
	ds_read2st64_b64 v[10:13], v23 offset1:8
	s_waitcnt lgkmcnt(2)
	v_mul_f32_e32 v16, v7, v15
	v_mul_f32_e64 v7, v7, -v14
	v_fmac_f32_e32 v16, v14, v6
	v_fmac_f32_e32 v7, v15, v6
	s_waitcnt lgkmcnt(0)
	v_mul_f32_e32 v6, v13, v13
	v_fmac_f32_e32 v6, v12, v12
	v_div_scale_f32 v24, s[12:13], v6, v6, 1.0
	v_rcp_f32_e32 v25, v24
	v_mul_f32_e32 v22, v7, v17
	v_add_u32_e32 v7, 0x1800, v3
	v_mul_f32_e32 v20, v17, v16
	ds_read2_b64 v[14:17], v7 offset0:247 offset1:255
	v_fma_f32 v7, -v24, v25, 1.0
	v_fmac_f32_e32 v25, v7, v25
	v_div_scale_f32 v7, vcc, 1.0, v6, 1.0
	v_mul_f32_e32 v26, v7, v25
	v_fma_f32 v27, -v24, v26, v7
	v_fmac_f32_e32 v26, v27, v25
	v_fma_f32 v7, -v24, v26, v7
	v_div_fmas_f32 v7, v7, v25, v26
	v_div_fixup_f32 v6, v7, v6, 1.0
	s_waitcnt lgkmcnt(0)
	v_mul_f32_e32 v7, v13, v17
	v_fmac_f32_e32 v7, v16, v12
	v_mul_f32_e32 v24, v6, v7
	v_mul_f32_e64 v7, v13, -v16
	v_fmac_f32_e32 v7, v17, v12
	v_mul_f32_e32 v16, v7, v6
	v_pk_mul_f32 v[6:7], v[22:23], v[14:15] op_sel:[0,1] op_sel_hi:[0,0] neg_lo:[0,1]
	v_pk_fma_f32 v[6:7], v[14:15], v[20:21], v[6:7] op_sel_hi:[1,0,1]
	v_pk_add_f32 v[14:15], v[8:9], v[6:7] neg_lo:[0,1] neg_hi:[0,1]
	v_add_u32_e32 v6, 0x3800, v3
	ds_read2_b64 v[6:9], v6 offset0:247 offset1:255
	v_pk_mul_f32 v[12:13], v[16:17], v[10:11] op_sel:[0,1] op_sel_hi:[0,0] neg_lo:[0,1]
	v_pk_fma_f32 v[26:27], v[10:11], v[24:25], v[12:13] op_sel_hi:[1,0,1]
	ds_read2st64_b64 v[10:13], v23 offset0:16 offset1:32
	v_pk_add_f32 v[14:15], v[14:15], v[26:27] neg_lo:[0,1] neg_hi:[0,1]
	s_waitcnt lgkmcnt(1)
	v_pk_mul_f32 v[26:27], v[22:23], v[6:7] op_sel:[0,1] op_sel_hi:[0,0] neg_lo:[0,1]
	v_pk_fma_f32 v[6:7], v[6:7], v[20:21], v[26:27] op_sel_hi:[1,0,1]
	v_pk_add_f32 v[6:7], v[8:9], v[6:7] neg_lo:[0,1] neg_hi:[0,1]
	s_waitcnt lgkmcnt(0)
	v_pk_mul_f32 v[8:9], v[16:17], v[12:13] op_sel:[0,1] op_sel_hi:[0,0] neg_lo:[0,1]
	v_pk_fma_f32 v[8:9], v[12:13], v[24:25], v[8:9] op_sel_hi:[1,0,1]
	v_pk_add_f32 v[6:7], v[6:7], v[8:9] neg_lo:[0,1] neg_hi:[0,1]
	ds_write_b64 v3, v[6:7] offset:16376
	v_pk_mul_f32 v[6:7], v[22:23], v[18:19] op_sel:[0,1] op_sel_hi:[0,0] neg_hi:[0,1]
	v_pk_fma_f32 v[6:7], v[18:19], v[20:21], v[6:7] op_sel_hi:[1,0,1] neg_lo:[1,0,0] neg_hi:[1,0,0]
	ds_write_b64 v21, v[6:7]
	v_pk_mul_f32 v[6:7], v[16:17], v[10:11] op_sel:[0,1] op_sel_hi:[0,0] neg_hi:[0,1]
	v_pk_fma_f32 v[6:7], v[10:11], v[24:25], v[6:7] op_sel_hi:[1,0,1] neg_lo:[1,0,0] neg_hi:[1,0,0]
	v_add_u32_e32 v3, 0x1f8, v3
	ds_write2st64_b64 v3, v[14:15], v[6:7] offset0:7 offset1:15
.LBB60_8:
	s_or_b64 exec, exec, s[10:11]
	v_cmp_gt_u32_e64 s[10:11], 16, v0
	s_waitcnt lgkmcnt(0)
	s_barrier
	s_and_saveexec_b64 s[12:13], s[10:11]
	s_cbranch_execz .LBB60_10
; %bb.9:
	v_lshlrev_b32_e32 v3, 8, v2
	v_add_u32_e32 v6, 0x800, v3
	ds_read2_b64 v[6:9], v6 offset0:239 offset1:255
	v_lshl_or_b32 v10, v2, 5, 15
	v_min_u32_e32 v10, 0x1ff, v10
	v_add_u32_e32 v21, -8, v3
	v_lshlrev_b32_e32 v23, 3, v10
	s_waitcnt lgkmcnt(0)
	v_mul_f32_e32 v11, v7, v7
	v_fmac_f32_e32 v11, v6, v6
	v_div_scale_f32 v12, s[14:15], v11, v11, 1.0
	v_rcp_f32_e32 v13, v12
	v_div_scale_f32 v14, vcc, 1.0, v11, 1.0
	v_add_u32_e32 v16, 0xffffff78, v3
	v_fma_f32 v15, -v12, v13, 1.0
	v_fmac_f32_e32 v13, v15, v13
	v_mul_f32_e32 v17, v14, v13
	v_fma_f32 v15, -v12, v17, v14
	v_fmac_f32_e32 v17, v15, v13
	v_fma_f32 v12, -v12, v17, v14
	ds_read_b64 v[14:15], v21
	ds_read_b64 v[18:19], v16
	v_div_fmas_f32 v12, v12, v13, v17
	v_div_fixup_f32 v17, v12, v11, 1.0
	ds_read2st64_b64 v[10:13], v23 offset1:8
	s_waitcnt lgkmcnt(2)
	v_mul_f32_e32 v16, v7, v15
	v_mul_f32_e64 v7, v7, -v14
	v_fmac_f32_e32 v16, v14, v6
	v_fmac_f32_e32 v7, v15, v6
	s_waitcnt lgkmcnt(0)
	v_mul_f32_e32 v6, v13, v13
	v_fmac_f32_e32 v6, v12, v12
	v_div_scale_f32 v24, s[14:15], v6, v6, 1.0
	v_rcp_f32_e32 v25, v24
	v_mul_f32_e32 v22, v7, v17
	v_add_u32_e32 v7, 0x1800, v3
	v_mul_f32_e32 v20, v17, v16
	ds_read2_b64 v[14:17], v7 offset0:239 offset1:255
	v_fma_f32 v7, -v24, v25, 1.0
	v_fmac_f32_e32 v25, v7, v25
	v_div_scale_f32 v7, vcc, 1.0, v6, 1.0
	v_mul_f32_e32 v26, v7, v25
	v_fma_f32 v27, -v24, v26, v7
	v_fmac_f32_e32 v26, v27, v25
	v_fma_f32 v7, -v24, v26, v7
	v_div_fmas_f32 v7, v7, v25, v26
	v_div_fixup_f32 v6, v7, v6, 1.0
	s_waitcnt lgkmcnt(0)
	v_mul_f32_e32 v7, v13, v17
	v_fmac_f32_e32 v7, v16, v12
	v_mul_f32_e32 v24, v6, v7
	v_mul_f32_e64 v7, v13, -v16
	v_fmac_f32_e32 v7, v17, v12
	v_mul_f32_e32 v16, v7, v6
	v_pk_mul_f32 v[6:7], v[22:23], v[14:15] op_sel:[0,1] op_sel_hi:[0,0] neg_lo:[0,1]
	v_pk_fma_f32 v[6:7], v[14:15], v[20:21], v[6:7] op_sel_hi:[1,0,1]
	v_pk_add_f32 v[14:15], v[8:9], v[6:7] neg_lo:[0,1] neg_hi:[0,1]
	v_add_u32_e32 v6, 0x3800, v3
	ds_read2_b64 v[6:9], v6 offset0:239 offset1:255
	v_pk_mul_f32 v[12:13], v[16:17], v[10:11] op_sel:[0,1] op_sel_hi:[0,0] neg_lo:[0,1]
	v_pk_fma_f32 v[26:27], v[10:11], v[24:25], v[12:13] op_sel_hi:[1,0,1]
	ds_read2st64_b64 v[10:13], v23 offset0:16 offset1:32
	v_pk_add_f32 v[14:15], v[14:15], v[26:27] neg_lo:[0,1] neg_hi:[0,1]
	s_waitcnt lgkmcnt(1)
	v_pk_mul_f32 v[26:27], v[22:23], v[6:7] op_sel:[0,1] op_sel_hi:[0,0] neg_lo:[0,1]
	v_pk_fma_f32 v[6:7], v[6:7], v[20:21], v[26:27] op_sel_hi:[1,0,1]
	v_pk_add_f32 v[6:7], v[8:9], v[6:7] neg_lo:[0,1] neg_hi:[0,1]
	s_waitcnt lgkmcnt(0)
	v_pk_mul_f32 v[8:9], v[16:17], v[12:13] op_sel:[0,1] op_sel_hi:[0,0] neg_lo:[0,1]
	v_pk_fma_f32 v[8:9], v[12:13], v[24:25], v[8:9] op_sel_hi:[1,0,1]
	v_pk_add_f32 v[6:7], v[6:7], v[8:9] neg_lo:[0,1] neg_hi:[0,1]
	ds_write_b64 v3, v[6:7] offset:16376
	v_pk_mul_f32 v[6:7], v[22:23], v[18:19] op_sel:[0,1] op_sel_hi:[0,0] neg_hi:[0,1]
	v_pk_fma_f32 v[6:7], v[18:19], v[20:21], v[6:7] op_sel_hi:[1,0,1] neg_lo:[1,0,0] neg_hi:[1,0,0]
	ds_write_b64 v21, v[6:7]
	v_pk_mul_f32 v[6:7], v[16:17], v[10:11] op_sel:[0,1] op_sel_hi:[0,0] neg_hi:[0,1]
	v_pk_fma_f32 v[6:7], v[10:11], v[24:25], v[6:7] op_sel_hi:[1,0,1] neg_lo:[1,0,0] neg_hi:[1,0,0]
	v_add_u32_e32 v3, 0x1f8, v3
	ds_write2st64_b64 v3, v[14:15], v[6:7] offset0:7 offset1:15
.LBB60_10:
	s_or_b64 exec, exec, s[12:13]
	v_cmp_gt_u32_e64 s[14:15], 8, v0
	s_waitcnt lgkmcnt(0)
	s_barrier
	s_and_saveexec_b64 s[12:13], s[14:15]
	s_cbranch_execz .LBB60_12
; %bb.11:
	v_lshlrev_b32_e32 v3, 9, v2
	v_add_u32_e32 v6, 0x800, v3
	ds_read2_b64 v[6:9], v6 offset0:223 offset1:255
	v_lshl_or_b32 v10, v2, 6, 31
	v_min_u32_e32 v10, 0x1ff, v10
	v_add_u32_e32 v21, -8, v3
	v_lshlrev_b32_e32 v23, 3, v10
	s_waitcnt lgkmcnt(0)
	v_mul_f32_e32 v11, v7, v7
	v_fmac_f32_e32 v11, v6, v6
	v_div_scale_f32 v12, s[16:17], v11, v11, 1.0
	v_rcp_f32_e32 v13, v12
	v_div_scale_f32 v14, vcc, 1.0, v11, 1.0
	v_add_u32_e32 v16, 0xfffffef8, v3
	v_fma_f32 v15, -v12, v13, 1.0
	v_fmac_f32_e32 v13, v15, v13
	v_mul_f32_e32 v17, v14, v13
	v_fma_f32 v15, -v12, v17, v14
	v_fmac_f32_e32 v17, v15, v13
	v_fma_f32 v12, -v12, v17, v14
	ds_read_b64 v[14:15], v21
	ds_read_b64 v[18:19], v16
	v_div_fmas_f32 v12, v12, v13, v17
	v_div_fixup_f32 v17, v12, v11, 1.0
	ds_read2st64_b64 v[10:13], v23 offset1:8
	s_waitcnt lgkmcnt(2)
	v_mul_f32_e32 v16, v7, v15
	v_mul_f32_e64 v7, v7, -v14
	v_fmac_f32_e32 v16, v14, v6
	v_fmac_f32_e32 v7, v15, v6
	s_waitcnt lgkmcnt(0)
	v_mul_f32_e32 v6, v13, v13
	v_fmac_f32_e32 v6, v12, v12
	v_div_scale_f32 v24, s[16:17], v6, v6, 1.0
	v_rcp_f32_e32 v25, v24
	v_mul_f32_e32 v22, v7, v17
	v_add_u32_e32 v7, 0x1800, v3
	v_mul_f32_e32 v20, v17, v16
	ds_read2_b64 v[14:17], v7 offset0:223 offset1:255
	v_fma_f32 v7, -v24, v25, 1.0
	v_fmac_f32_e32 v25, v7, v25
	v_div_scale_f32 v7, vcc, 1.0, v6, 1.0
	v_mul_f32_e32 v26, v7, v25
	v_fma_f32 v27, -v24, v26, v7
	v_fmac_f32_e32 v26, v27, v25
	v_fma_f32 v7, -v24, v26, v7
	v_div_fmas_f32 v7, v7, v25, v26
	v_div_fixup_f32 v6, v7, v6, 1.0
	s_waitcnt lgkmcnt(0)
	v_mul_f32_e32 v7, v13, v17
	v_fmac_f32_e32 v7, v16, v12
	v_mul_f32_e32 v24, v6, v7
	v_mul_f32_e64 v7, v13, -v16
	v_fmac_f32_e32 v7, v17, v12
	v_mul_f32_e32 v16, v7, v6
	v_pk_mul_f32 v[6:7], v[22:23], v[14:15] op_sel:[0,1] op_sel_hi:[0,0] neg_lo:[0,1]
	v_pk_fma_f32 v[6:7], v[14:15], v[20:21], v[6:7] op_sel_hi:[1,0,1]
	v_pk_add_f32 v[14:15], v[8:9], v[6:7] neg_lo:[0,1] neg_hi:[0,1]
	v_add_u32_e32 v6, 0x3800, v3
	ds_read2_b64 v[6:9], v6 offset0:223 offset1:255
	v_pk_mul_f32 v[12:13], v[16:17], v[10:11] op_sel:[0,1] op_sel_hi:[0,0] neg_lo:[0,1]
	v_pk_fma_f32 v[26:27], v[10:11], v[24:25], v[12:13] op_sel_hi:[1,0,1]
	ds_read2st64_b64 v[10:13], v23 offset0:16 offset1:32
	v_pk_add_f32 v[14:15], v[14:15], v[26:27] neg_lo:[0,1] neg_hi:[0,1]
	s_waitcnt lgkmcnt(1)
	v_pk_mul_f32 v[26:27], v[22:23], v[6:7] op_sel:[0,1] op_sel_hi:[0,0] neg_lo:[0,1]
	v_pk_fma_f32 v[6:7], v[6:7], v[20:21], v[26:27] op_sel_hi:[1,0,1]
	v_pk_add_f32 v[6:7], v[8:9], v[6:7] neg_lo:[0,1] neg_hi:[0,1]
	s_waitcnt lgkmcnt(0)
	v_pk_mul_f32 v[8:9], v[16:17], v[12:13] op_sel:[0,1] op_sel_hi:[0,0] neg_lo:[0,1]
	v_pk_fma_f32 v[8:9], v[12:13], v[24:25], v[8:9] op_sel_hi:[1,0,1]
	v_pk_add_f32 v[6:7], v[6:7], v[8:9] neg_lo:[0,1] neg_hi:[0,1]
	ds_write_b64 v3, v[6:7] offset:16376
	v_pk_mul_f32 v[6:7], v[22:23], v[18:19] op_sel:[0,1] op_sel_hi:[0,0] neg_hi:[0,1]
	v_pk_fma_f32 v[6:7], v[18:19], v[20:21], v[6:7] op_sel_hi:[1,0,1] neg_lo:[1,0,0] neg_hi:[1,0,0]
	ds_write_b64 v21, v[6:7]
	v_pk_mul_f32 v[6:7], v[16:17], v[10:11] op_sel:[0,1] op_sel_hi:[0,0] neg_hi:[0,1]
	v_pk_fma_f32 v[6:7], v[10:11], v[24:25], v[6:7] op_sel_hi:[1,0,1] neg_lo:[1,0,0] neg_hi:[1,0,0]
	v_add_u32_e32 v3, 0x1f8, v3
	ds_write2st64_b64 v3, v[14:15], v[6:7] offset0:7 offset1:15
.LBB60_12:
	s_or_b64 exec, exec, s[12:13]
	v_cmp_gt_u32_e64 s[16:17], 4, v0
	s_waitcnt lgkmcnt(0)
	s_barrier
	s_and_saveexec_b64 s[12:13], s[16:17]
	s_cbranch_execz .LBB60_14
; %bb.13:
	v_lshlrev_b32_e32 v3, 10, v2
	v_add_u32_e32 v23, 0x1f8, v3
	ds_read2st64_b64 v[6:9], v23 offset0:6 offset1:7
	ds_read2st64_b64 v[10:13], v23 offset0:14 offset1:15
	v_lshl_or_b32 v14, v2, 7, 63
	v_min_u32_e32 v14, 0x1ff, v14
	v_add_u32_e32 v25, -8, v3
	s_waitcnt lgkmcnt(1)
	v_mul_f32_e32 v15, v7, v7
	v_fmac_f32_e32 v15, v6, v6
	v_div_scale_f32 v16, s[18:19], v15, v15, 1.0
	v_rcp_f32_e32 v17, v16
	v_add_u32_e32 v20, 0xfffffdf8, v3
	v_lshlrev_b32_e32 v28, 3, v14
	v_fma_f32 v18, -v16, v17, 1.0
	v_fmac_f32_e32 v17, v18, v17
	v_div_scale_f32 v18, vcc, 1.0, v15, 1.0
	v_mul_f32_e32 v19, v18, v17
	v_fma_f32 v21, -v16, v19, v18
	v_fmac_f32_e32 v19, v21, v17
	v_fma_f32 v16, -v16, v19, v18
	v_div_fmas_f32 v16, v16, v17, v19
	ds_read_b64 v[18:19], v25
	v_div_fixup_f32 v24, v16, v15, 1.0
	ds_read2st64_b64 v[14:17], v28 offset1:8
	ds_read_b64 v[20:21], v20
	s_waitcnt lgkmcnt(2)
	v_mul_f32_e32 v22, v7, v19
	s_waitcnt lgkmcnt(1)
	v_mul_f32_e32 v26, v17, v17
	v_fmac_f32_e32 v26, v16, v16
	v_div_scale_f32 v27, s[18:19], v26, v26, 1.0
	v_rcp_f32_e32 v29, v27
	v_mul_f32_e64 v7, v7, -v18
	v_fmac_f32_e32 v22, v18, v6
	v_fmac_f32_e32 v7, v19, v6
	v_fma_f32 v6, -v27, v29, 1.0
	v_fmac_f32_e32 v29, v6, v29
	v_div_scale_f32 v6, vcc, 1.0, v26, 1.0
	v_mul_f32_e32 v18, v7, v24
	v_mul_f32_e32 v7, v6, v29
	v_fma_f32 v19, -v27, v7, v6
	v_fmac_f32_e32 v7, v19, v29
	v_fma_f32 v6, -v27, v7, v6
	v_div_fmas_f32 v6, v6, v29, v7
	v_mul_f32_e32 v7, v17, v13
	v_div_fixup_f32 v6, v6, v26, 1.0
	v_fmac_f32_e32 v7, v12, v16
	v_mul_f32_e32 v22, v24, v22
	v_mul_f32_e32 v24, v6, v7
	v_mul_f32_e64 v7, v17, -v12
	v_fmac_f32_e32 v7, v13, v16
	v_mul_f32_e32 v16, v7, v6
	v_pk_mul_f32 v[6:7], v[18:19], v[10:11] op_sel:[0,1] op_sel_hi:[0,0] neg_lo:[0,1]
	v_pk_fma_f32 v[6:7], v[10:11], v[22:23], v[6:7] op_sel_hi:[1,0,1]
	v_pk_add_f32 v[26:27], v[8:9], v[6:7] neg_lo:[0,1] neg_hi:[0,1]
	ds_read2st64_b64 v[6:9], v23 offset0:30 offset1:31
	v_pk_mul_f32 v[10:11], v[16:17], v[14:15] op_sel:[0,1] op_sel_hi:[0,0] neg_lo:[0,1]
	v_pk_fma_f32 v[14:15], v[14:15], v[24:25], v[10:11] op_sel_hi:[1,0,1]
	ds_read2st64_b64 v[10:13], v28 offset0:16 offset1:32
	v_pk_add_f32 v[14:15], v[26:27], v[14:15] neg_lo:[0,1] neg_hi:[0,1]
	s_waitcnt lgkmcnt(1)
	v_pk_mul_f32 v[26:27], v[18:19], v[6:7] op_sel:[0,1] op_sel_hi:[0,0] neg_lo:[0,1]
	v_pk_fma_f32 v[6:7], v[6:7], v[22:23], v[26:27] op_sel_hi:[1,0,1]
	v_pk_add_f32 v[6:7], v[8:9], v[6:7] neg_lo:[0,1] neg_hi:[0,1]
	s_waitcnt lgkmcnt(0)
	v_pk_mul_f32 v[8:9], v[16:17], v[12:13] op_sel:[0,1] op_sel_hi:[0,0] neg_lo:[0,1]
	v_pk_fma_f32 v[8:9], v[12:13], v[24:25], v[8:9] op_sel_hi:[1,0,1]
	v_pk_add_f32 v[6:7], v[6:7], v[8:9] neg_lo:[0,1] neg_hi:[0,1]
	ds_write_b64 v3, v[6:7] offset:16376
	v_pk_mul_f32 v[6:7], v[18:19], v[20:21] op_sel:[0,1] op_sel_hi:[0,0] neg_hi:[0,1]
	v_pk_fma_f32 v[6:7], v[20:21], v[22:23], v[6:7] op_sel_hi:[1,0,1] neg_lo:[1,0,0] neg_hi:[1,0,0]
	ds_write_b64 v25, v[6:7]
	v_pk_mul_f32 v[6:7], v[16:17], v[10:11] op_sel:[0,1] op_sel_hi:[0,0] neg_hi:[0,1]
	v_pk_fma_f32 v[6:7], v[10:11], v[24:25], v[6:7] op_sel_hi:[1,0,1] neg_lo:[1,0,0] neg_hi:[1,0,0]
	ds_write2st64_b64 v23, v[14:15], v[6:7] offset0:7 offset1:15
.LBB60_14:
	s_or_b64 exec, exec, s[12:13]
	v_cmp_gt_u32_e64 s[18:19], 2, v0
	s_waitcnt lgkmcnt(0)
	s_barrier
	s_and_saveexec_b64 s[12:13], s[18:19]
	s_cbranch_execz .LBB60_16
; %bb.15:
	v_lshlrev_b32_e32 v21, 11, v2
	v_add_u32_e32 v23, 0x1f8, v21
	ds_read2st64_b64 v[6:9], v23 offset0:5 offset1:7
	v_mov_b32_e32 v3, 0x7f
	v_lshl_or_b32 v2, v2, 8, v3
	v_min_u32_e32 v12, 0x1ff, v2
	v_add_u32_e32 v26, -8, v21
	s_waitcnt lgkmcnt(0)
	v_mul_f32_e32 v10, v7, v7
	v_fmac_f32_e32 v10, v6, v6
	v_div_scale_f32 v3, s[22:23], v10, v10, 1.0
	v_rcp_f32_e32 v11, v3
	v_lshlrev_b32_e32 v27, 3, v12
	v_add_u32_e32 v14, 0xfffffbf8, v21
	v_fma_f32 v2, -v3, v11, 1.0
	v_fmac_f32_e32 v11, v2, v11
	v_div_scale_f32 v2, vcc, 1.0, v10, 1.0
	v_mul_f32_e32 v13, v2, v11
	v_fma_f32 v15, -v3, v13, v2
	v_fmac_f32_e32 v13, v15, v11
	v_fma_f32 v2, -v3, v13, v2
	v_div_fmas_f32 v11, v2, v11, v13
	ds_read_b64 v[2:3], v26
	v_div_fixup_f32 v15, v11, v10, 1.0
	ds_read2st64_b64 v[10:13], v27 offset1:8
	ds_read_b64 v[18:19], v14
	s_waitcnt lgkmcnt(2)
	v_mul_f32_e32 v14, v7, v3
	v_fmac_f32_e32 v14, v2, v6
	v_mul_f32_e64 v2, v7, -v2
	s_waitcnt lgkmcnt(1)
	v_mul_f32_e32 v7, v13, v13
	v_fmac_f32_e32 v7, v12, v12
	v_div_scale_f32 v22, s[22:23], v7, v7, 1.0
	v_rcp_f32_e32 v24, v22
	v_fmac_f32_e32 v2, v3, v6
	v_mul_f32_e32 v20, v15, v14
	v_mul_f32_e32 v2, v2, v15
	v_fma_f32 v3, -v22, v24, 1.0
	ds_read2st64_b64 v[14:17], v23 offset0:13 offset1:15
	v_fmac_f32_e32 v24, v3, v24
	v_div_scale_f32 v3, vcc, 1.0, v7, 1.0
	v_mul_f32_e32 v6, v3, v24
	v_fma_f32 v25, -v22, v6, v3
	v_fmac_f32_e32 v6, v25, v24
	v_fma_f32 v3, -v22, v6, v3
	v_div_fmas_f32 v3, v3, v24, v6
	s_waitcnt lgkmcnt(0)
	v_mul_f32_e32 v6, v13, v17
	v_div_fixup_f32 v3, v3, v7, 1.0
	v_fmac_f32_e32 v6, v16, v12
	v_mul_f32_e32 v22, v3, v6
	v_mul_f32_e64 v6, v13, -v16
	v_fmac_f32_e32 v6, v17, v12
	v_mul_f32_e32 v16, v6, v3
	v_pk_mul_f32 v[6:7], v[2:3], v[14:15] op_sel:[0,1] op_sel_hi:[0,0] neg_lo:[0,1]
	v_pk_fma_f32 v[6:7], v[14:15], v[20:21], v[6:7] op_sel_hi:[1,0,1]
	v_pk_add_f32 v[14:15], v[8:9], v[6:7] neg_lo:[0,1] neg_hi:[0,1]
	ds_read2st64_b64 v[6:9], v23 offset0:29 offset1:31
	v_pk_mul_f32 v[12:13], v[16:17], v[10:11] op_sel:[0,1] op_sel_hi:[0,0] neg_lo:[0,1]
	v_pk_fma_f32 v[24:25], v[10:11], v[22:23], v[12:13] op_sel_hi:[1,0,1]
	ds_read2st64_b64 v[10:13], v27 offset0:16 offset1:32
	v_pk_add_f32 v[14:15], v[14:15], v[24:25] neg_lo:[0,1] neg_hi:[0,1]
	s_waitcnt lgkmcnt(1)
	v_pk_mul_f32 v[24:25], v[2:3], v[6:7] op_sel:[0,1] op_sel_hi:[0,0] neg_lo:[0,1]
	v_pk_fma_f32 v[6:7], v[6:7], v[20:21], v[24:25] op_sel_hi:[1,0,1]
	v_pk_mul_f32 v[2:3], v[2:3], v[18:19] op_sel:[0,1] op_sel_hi:[0,0] neg_hi:[0,1]
	v_pk_add_f32 v[6:7], v[8:9], v[6:7] neg_lo:[0,1] neg_hi:[0,1]
	s_waitcnt lgkmcnt(0)
	v_pk_mul_f32 v[8:9], v[16:17], v[12:13] op_sel:[0,1] op_sel_hi:[0,0] neg_lo:[0,1]
	v_pk_fma_f32 v[2:3], v[18:19], v[20:21], v[2:3] op_sel_hi:[1,0,1] neg_lo:[1,0,0] neg_hi:[1,0,0]
	v_pk_fma_f32 v[8:9], v[12:13], v[22:23], v[8:9] op_sel_hi:[1,0,1]
	ds_write_b64 v26, v[2:3]
	v_pk_mul_f32 v[2:3], v[16:17], v[10:11] op_sel:[0,1] op_sel_hi:[0,0] neg_hi:[0,1]
	v_pk_add_f32 v[6:7], v[6:7], v[8:9] neg_lo:[0,1] neg_hi:[0,1]
	v_pk_fma_f32 v[2:3], v[10:11], v[22:23], v[2:3] op_sel_hi:[1,0,1] neg_lo:[1,0,0] neg_hi:[1,0,0]
	ds_write_b64 v21, v[6:7] offset:16376
	ds_write2st64_b64 v23, v[14:15], v[2:3] offset0:7 offset1:15
.LBB60_16:
	s_or_b64 exec, exec, s[12:13]
	v_cmp_ne_u32_e64 s[12:13], 0, v0
	v_cmp_eq_u32_e32 vcc, 0, v0
	s_waitcnt lgkmcnt(0)
	s_barrier
	s_and_saveexec_b64 s[22:23], vcc
	s_cbranch_execz .LBB60_18
; %bb.17:
	s_movk_i32 s6, 0x1f8
	v_add_u32_e64 v23, s6, 0
	v_mov_b32_e32 v2, 0x17fc
	ds_read2st64_b64 v[6:9], v23 offset0:15 offset1:19
	ds_read2_b32 v[2:3], v2 offset1:1
	ds_read2st64_b64 v[10:13], v23 offset0:7 offset1:11
	v_mov_b32_e32 v14, 0x47fc
	ds_read2_b32 v[18:19], v14 offset1:1
	s_waitcnt lgkmcnt(2)
	v_pk_mul_f32 v[14:15], v[2:3], v[6:7] op_sel:[0,1] op_sel_hi:[0,0] neg_lo:[0,1]
	s_waitcnt lgkmcnt(1)
	v_pk_mul_f32 v[16:17], v[10:11], v[8:9] op_sel:[1,1] op_sel_hi:[1,0] neg_lo:[0,1]
	v_pk_fma_f32 v[14:15], v[6:7], v[12:13], v[14:15] op_sel_hi:[1,0,1]
	v_pk_fma_f32 v[16:17], v[8:9], v[10:11], v[16:17] op_sel_hi:[1,0,1]
	v_pk_add_f32 v[20:21], v[14:15], v[16:17] neg_lo:[0,1] neg_hi:[0,1]
	v_mul_f32_e32 v22, v21, v21
	v_fmac_f32_e32 v22, v20, v20
	v_div_scale_f32 v24, s[24:25], v22, v22, 1.0
	v_rcp_f32_e32 v25, v24
	ds_read2st64_b64 v[14:17], v23 offset0:35 offset1:39
	s_waitcnt lgkmcnt(1)
	v_pk_mul_f32 v[18:19], v[18:19], v[6:7] op_sel:[0,1] op_sel_hi:[0,0] neg_lo:[0,1]
	v_fma_f32 v26, -v24, v25, 1.0
	v_fmac_f32_e32 v25, v26, v25
	v_div_scale_f32 v26, vcc, 1.0, v22, 1.0
	v_mul_f32_e32 v27, v26, v25
	v_fma_f32 v28, -v24, v27, v26
	v_fmac_f32_e32 v27, v28, v25
	v_fma_f32 v24, -v24, v27, v26
	v_div_fmas_f32 v24, v24, v25, v27
	s_waitcnt lgkmcnt(0)
	v_pk_fma_f32 v[6:7], v[6:7], v[14:15], v[18:19] op_sel_hi:[1,0,1]
	v_pk_mul_f32 v[18:19], v[16:17], v[8:9] op_sel:[1,1] op_sel_hi:[1,0] neg_lo:[0,1]
	v_div_fixup_f32 v24, v24, v22, 1.0
	v_fma_f32 v22, 0, v21, v20
	v_fma_f32 v20, v20, 0, -v21
	v_pk_fma_f32 v[8:9], v[8:9], v[16:17], v[18:19] op_sel_hi:[1,0,1]
	v_mul_f32_e32 v20, v20, v24
	v_pk_add_f32 v[6:7], v[6:7], v[8:9] neg_lo:[0,1] neg_hi:[0,1]
	v_mul_f32_e32 v22, v22, v24
	v_pk_mul_f32 v[8:9], v[20:21], v[6:7] op_sel:[0,1] op_sel_hi:[0,0] neg_lo:[0,1]
	v_pk_fma_f32 v[6:7], v[6:7], v[22:23], v[8:9] op_sel_hi:[1,0,1]
	v_pk_mul_f32 v[2:3], v[2:3], v[16:17] op_sel:[0,1] op_sel_hi:[0,0] neg_lo:[0,1]
	v_pk_mul_f32 v[8:9], v[10:11], v[14:15] op_sel:[1,1] op_sel_hi:[1,0] neg_lo:[0,1]
	v_pk_fma_f32 v[2:3], v[16:17], v[12:13], v[2:3] op_sel_hi:[1,0,1]
	v_pk_fma_f32 v[8:9], v[14:15], v[10:11], v[8:9] op_sel_hi:[1,0,1]
	v_pk_add_f32 v[2:3], v[2:3], v[8:9] neg_lo:[0,1] neg_hi:[0,1]
	v_pk_mul_f32 v[8:9], v[20:21], v[2:3] op_sel:[0,1] op_sel_hi:[0,0] neg_lo:[0,1]
	v_pk_fma_f32 v[2:3], v[2:3], v[22:23], v[8:9] op_sel_hi:[1,0,1]
	ds_write2st64_b64 v23, v[6:7], v[2:3] offset0:27 offset1:31
.LBB60_18:
	s_or_b64 exec, exec, s[22:23]
	s_load_dwordx2 s[22:23], s[4:5], 0x30
	s_waitcnt lgkmcnt(0)
	s_barrier
	s_and_saveexec_b64 s[24:25], s[18:19]
	s_cbranch_execz .LBB60_24
; %bb.19:
	v_lshlrev_b32_e32 v2, 8, v0
	v_lshlrev_b32_e32 v6, 3, v2
                                        ; implicit-def: $vgpr2_vgpr3
	s_and_saveexec_b64 s[18:19], s[12:13]
	s_xor_b64 s[18:19], exec, s[18:19]
	s_cbranch_execz .LBB60_21
; %bb.20:
	v_add_u32_e32 v2, 0x1f8, v6
	ds_read2st64_b64 v[8:11], v2 offset0:1 offset1:9
	ds_read2st64_b64 v[12:15], v2 offset0:17 offset1:23
	;; [unrolled: 1-line block ×3, first 2 shown]
	s_waitcnt lgkmcnt(2)
	v_mul_f32_e32 v7, v11, v11
	v_fmac_f32_e32 v7, v10, v10
	v_div_scale_f32 v20, s[26:27], v7, v7, 1.0
	v_rcp_f32_e32 v21, v20
	v_div_scale_f32 v22, vcc, 1.0, v7, 1.0
	s_waitcnt lgkmcnt(1)
	v_pk_mul_f32 v[2:3], v[14:15], v[8:9] op_sel:[1,1] op_sel_hi:[1,0] neg_lo:[0,1]
	v_fma_f32 v23, -v20, v21, 1.0
	v_fmac_f32_e32 v21, v23, v21
	v_mul_f32_e32 v23, v22, v21
	v_fma_f32 v24, -v20, v23, v22
	v_pk_fma_f32 v[2:3], v[8:9], v[14:15], v[2:3] op_sel_hi:[1,0,1]
	s_waitcnt lgkmcnt(0)
	v_pk_mul_f32 v[8:9], v[16:17], v[12:13] op_sel:[1,1] op_sel_hi:[1,0] neg_lo:[0,1]
	v_fmac_f32_e32 v23, v24, v21
	v_pk_add_f32 v[2:3], v[18:19], v[2:3] neg_lo:[0,1] neg_hi:[0,1]
	v_pk_fma_f32 v[8:9], v[12:13], v[16:17], v[8:9] op_sel_hi:[1,0,1]
	v_fma_f32 v20, -v20, v23, v22
	v_pk_add_f32 v[2:3], v[2:3], v[8:9] neg_lo:[0,1] neg_hi:[0,1]
	v_div_fmas_f32 v20, v20, v21, v23
	v_pk_mul_f32 v[8:9], v[10:11], v[2:3] op_sel:[1,1] op_sel_hi:[1,0] neg_hi:[0,1]
	v_div_fixup_f32 v20, v20, v7, 1.0
	v_pk_fma_f32 v[2:3], v[2:3], v[10:11], v[8:9] op_sel_hi:[1,0,1]
	v_pk_mul_f32 v[2:3], v[20:21], v[2:3] op_sel_hi:[0,1]
.LBB60_21:
	s_andn2_saveexec_b64 s[18:19], s[18:19]
	s_cbranch_execz .LBB60_23
; %bb.22:
	v_add_u32_e32 v2, 0x1f8, v6
	ds_read2st64_b64 v[8:11], v2 offset0:9 offset1:17
	ds_read2st64_b64 v[12:15], v2 offset0:27 offset1:33
	s_waitcnt lgkmcnt(1)
	v_mul_f32_e32 v7, v9, v9
	v_fmac_f32_e32 v7, v8, v8
	v_div_scale_f32 v16, s[26:27], v7, v7, 1.0
	v_rcp_f32_e32 v17, v16
	s_waitcnt lgkmcnt(0)
	v_pk_mul_f32 v[2:3], v[12:13], v[10:11] op_sel:[1,1] op_sel_hi:[1,0] neg_lo:[0,1]
	v_pk_fma_f32 v[2:3], v[10:11], v[12:13], v[2:3] op_sel_hi:[1,0,1]
	v_div_scale_f32 v10, vcc, 1.0, v7, 1.0
	v_fma_f32 v11, -v16, v17, 1.0
	v_fmac_f32_e32 v17, v11, v17
	v_mul_f32_e32 v11, v10, v17
	v_fma_f32 v12, -v16, v11, v10
	v_fmac_f32_e32 v11, v12, v17
	v_fma_f32 v10, -v16, v11, v10
	v_pk_add_f32 v[2:3], v[14:15], v[2:3] neg_lo:[0,1] neg_hi:[0,1]
	v_div_fmas_f32 v10, v10, v17, v11
	v_pk_mul_f32 v[12:13], v[8:9], v[2:3] op_sel:[1,1] op_sel_hi:[1,0] neg_hi:[0,1]
	v_div_fixup_f32 v10, v10, v7, 1.0
	v_pk_fma_f32 v[2:3], v[2:3], v[8:9], v[12:13] op_sel_hi:[1,0,1]
	v_pk_mul_f32 v[2:3], v[10:11], v[2:3] op_sel_hi:[0,1]
.LBB60_23:
	s_or_b64 exec, exec, s[18:19]
	ds_write_b64 v6, v[2:3] offset:13304
.LBB60_24:
	s_or_b64 exec, exec, s[24:25]
	v_or_b32_e32 v6, 0x3000, v1
	s_waitcnt lgkmcnt(0)
	s_barrier
	s_and_saveexec_b64 s[18:19], s[16:17]
	s_cbranch_execz .LBB60_30
; %bb.25:
	v_lshlrev_b32_e32 v2, 7, v0
	v_lshlrev_b32_e32 v7, 3, v2
                                        ; implicit-def: $vgpr2_vgpr3
	s_and_saveexec_b64 s[16:17], s[12:13]
	s_xor_b64 s[16:17], exec, s[16:17]
	s_cbranch_execz .LBB60_27
; %bb.26:
	v_add_u32_e32 v2, 0x1f8, v7
	ds_read2st64_b64 v[8:11], v2 offset1:8
	ds_read2st64_b64 v[12:15], v2 offset0:16 offset1:23
	ds_read2st64_b64 v[16:19], v2 offset0:25 offset1:32
	s_waitcnt lgkmcnt(2)
	v_mul_f32_e32 v20, v11, v11
	v_fmac_f32_e32 v20, v10, v10
	v_div_scale_f32 v21, s[24:25], v20, v20, 1.0
	v_rcp_f32_e32 v22, v21
	v_div_scale_f32 v23, vcc, 1.0, v20, 1.0
	s_waitcnt lgkmcnt(1)
	v_pk_mul_f32 v[2:3], v[14:15], v[8:9] op_sel:[1,1] op_sel_hi:[1,0] neg_lo:[0,1]
	v_fma_f32 v24, -v21, v22, 1.0
	v_fmac_f32_e32 v22, v24, v22
	v_mul_f32_e32 v24, v23, v22
	v_fma_f32 v25, -v21, v24, v23
	v_pk_fma_f32 v[2:3], v[8:9], v[14:15], v[2:3] op_sel_hi:[1,0,1]
	s_waitcnt lgkmcnt(0)
	v_pk_mul_f32 v[8:9], v[16:17], v[12:13] op_sel:[1,1] op_sel_hi:[1,0] neg_lo:[0,1]
	v_fmac_f32_e32 v24, v25, v22
	v_pk_add_f32 v[2:3], v[18:19], v[2:3] neg_lo:[0,1] neg_hi:[0,1]
	v_pk_fma_f32 v[8:9], v[12:13], v[16:17], v[8:9] op_sel_hi:[1,0,1]
	v_fma_f32 v21, -v21, v24, v23
	v_pk_add_f32 v[2:3], v[2:3], v[8:9] neg_lo:[0,1] neg_hi:[0,1]
	v_div_fmas_f32 v21, v21, v22, v24
	v_pk_mul_f32 v[8:9], v[10:11], v[2:3] op_sel:[1,1] op_sel_hi:[1,0] neg_hi:[0,1]
	v_div_fixup_f32 v20, v21, v20, 1.0
	v_pk_fma_f32 v[2:3], v[2:3], v[10:11], v[8:9] op_sel_hi:[1,0,1]
	v_pk_mul_f32 v[2:3], v[20:21], v[2:3] op_sel_hi:[0,1]
.LBB60_27:
	s_andn2_saveexec_b64 s[16:17], s[16:17]
	s_cbranch_execz .LBB60_29
; %bb.28:
	v_add_u32_e32 v2, 0x1f8, v7
	ds_read2st64_b64 v[8:11], v2 offset0:8 offset1:16
	ds_read2st64_b64 v[12:15], v2 offset0:25 offset1:32
	s_waitcnt lgkmcnt(1)
	v_mul_f32_e32 v16, v9, v9
	v_fmac_f32_e32 v16, v8, v8
	v_div_scale_f32 v17, s[24:25], v16, v16, 1.0
	v_rcp_f32_e32 v18, v17
	s_waitcnt lgkmcnt(0)
	v_pk_mul_f32 v[2:3], v[12:13], v[10:11] op_sel:[1,1] op_sel_hi:[1,0] neg_lo:[0,1]
	v_pk_fma_f32 v[2:3], v[10:11], v[12:13], v[2:3] op_sel_hi:[1,0,1]
	v_div_scale_f32 v10, vcc, 1.0, v16, 1.0
	v_fma_f32 v11, -v17, v18, 1.0
	v_fmac_f32_e32 v18, v11, v18
	v_mul_f32_e32 v11, v10, v18
	v_fma_f32 v12, -v17, v11, v10
	v_fmac_f32_e32 v11, v12, v18
	v_fma_f32 v10, -v17, v11, v10
	v_pk_add_f32 v[2:3], v[14:15], v[2:3] neg_lo:[0,1] neg_hi:[0,1]
	v_div_fmas_f32 v10, v10, v18, v11
	v_pk_mul_f32 v[12:13], v[8:9], v[2:3] op_sel:[1,1] op_sel_hi:[1,0] neg_hi:[0,1]
	v_div_fixup_f32 v10, v10, v16, 1.0
	v_pk_fma_f32 v[2:3], v[2:3], v[8:9], v[12:13] op_sel_hi:[1,0,1]
	v_pk_mul_f32 v[2:3], v[10:11], v[2:3] op_sel_hi:[0,1]
.LBB60_29:
	s_or_b64 exec, exec, s[16:17]
	ds_write_b64 v7, v[2:3] offset:12792
.LBB60_30:
	s_or_b64 exec, exec, s[18:19]
	s_waitcnt lgkmcnt(0)
	s_barrier
	s_and_saveexec_b64 s[16:17], s[14:15]
	s_cbranch_execz .LBB60_36
; %bb.31:
	v_lshlrev_b32_e32 v2, 6, v0
	v_lshlrev_b32_e32 v7, 3, v2
                                        ; implicit-def: $vgpr2_vgpr3
	s_and_saveexec_b64 s[14:15], s[12:13]
	s_xor_b64 s[14:15], exec, s[14:15]
	s_cbranch_execz .LBB60_33
; %bb.32:
	v_add_u32_e32 v2, 0xf8, v7
	ds_read2st64_b64 v[8:11], v2 offset1:8
	v_add_u32_e32 v12, 0x1f8, v7
	ds_read_b64 v[2:3], v7 offset:16632
	ds_read_b64 v[16:17], v7 offset:8440
	ds_read2st64_b64 v[12:15], v12 offset0:23 offset1:24
	s_waitcnt lgkmcnt(3)
	v_mul_f32_e32 v18, v11, v11
	v_fmac_f32_e32 v18, v10, v10
	v_div_scale_f32 v19, s[18:19], v18, v18, 1.0
	v_rcp_f32_e32 v20, v19
	v_div_scale_f32 v21, vcc, 1.0, v18, 1.0
	v_fma_f32 v22, -v19, v20, 1.0
	v_fmac_f32_e32 v20, v22, v20
	v_mul_f32_e32 v22, v21, v20
	v_fma_f32 v23, -v19, v22, v21
	v_fmac_f32_e32 v22, v23, v20
	v_fma_f32 v19, -v19, v22, v21
	v_div_fmas_f32 v19, v19, v20, v22
	s_waitcnt lgkmcnt(0)
	v_pk_mul_f32 v[20:21], v[12:13], v[8:9] op_sel:[1,1] op_sel_hi:[1,0] neg_lo:[0,1]
	v_pk_fma_f32 v[8:9], v[8:9], v[12:13], v[20:21] op_sel_hi:[1,0,1]
	v_pk_add_f32 v[2:3], v[2:3], v[8:9] neg_lo:[0,1] neg_hi:[0,1]
	v_pk_mul_f32 v[8:9], v[14:15], v[16:17] op_sel:[1,1] op_sel_hi:[1,0] neg_lo:[0,1]
	v_pk_fma_f32 v[8:9], v[16:17], v[14:15], v[8:9] op_sel_hi:[1,0,1]
	v_pk_add_f32 v[2:3], v[2:3], v[8:9] neg_lo:[0,1] neg_hi:[0,1]
	v_pk_mul_f32 v[8:9], v[10:11], v[2:3] op_sel:[1,1] op_sel_hi:[1,0] neg_hi:[0,1]
	v_div_fixup_f32 v18, v19, v18, 1.0
	v_pk_fma_f32 v[2:3], v[2:3], v[10:11], v[8:9] op_sel_hi:[1,0,1]
	v_pk_mul_f32 v[2:3], v[18:19], v[2:3] op_sel_hi:[0,1]
.LBB60_33:
	s_andn2_saveexec_b64 s[14:15], s[14:15]
	s_cbranch_execz .LBB60_35
; %bb.34:
	v_add_u32_e32 v2, 0xf8, v7
	ds_read2st64_b64 v[8:11], v2 offset0:8 offset1:16
	ds_read_b64 v[2:3], v7 offset:12792
	ds_read_b64 v[12:13], v7 offset:16632
	s_waitcnt lgkmcnt(2)
	v_mul_f32_e32 v16, v9, v9
	v_fmac_f32_e32 v16, v8, v8
	v_div_scale_f32 v17, s[18:19], v16, v16, 1.0
	v_rcp_f32_e32 v18, v17
	v_div_scale_f32 v19, vcc, 1.0, v16, 1.0
	s_waitcnt lgkmcnt(1)
	v_pk_mul_f32 v[14:15], v[2:3], v[10:11] op_sel:[1,1] op_sel_hi:[1,0] neg_lo:[0,1]
	v_fma_f32 v20, -v17, v18, 1.0
	v_fmac_f32_e32 v18, v20, v18
	v_mul_f32_e32 v20, v19, v18
	v_fma_f32 v21, -v17, v20, v19
	v_fmac_f32_e32 v20, v21, v18
	v_pk_fma_f32 v[2:3], v[10:11], v[2:3], v[14:15] op_sel_hi:[1,0,1]
	v_fma_f32 v17, -v17, v20, v19
	s_waitcnt lgkmcnt(0)
	v_pk_add_f32 v[2:3], v[12:13], v[2:3] neg_lo:[0,1] neg_hi:[0,1]
	v_div_fmas_f32 v17, v17, v18, v20
	v_pk_mul_f32 v[10:11], v[8:9], v[2:3] op_sel:[1,1] op_sel_hi:[1,0] neg_hi:[0,1]
	v_div_fixup_f32 v16, v17, v16, 1.0
	v_pk_fma_f32 v[2:3], v[2:3], v[8:9], v[10:11] op_sel_hi:[1,0,1]
	v_pk_mul_f32 v[2:3], v[16:17], v[2:3] op_sel_hi:[0,1]
.LBB60_35:
	s_or_b64 exec, exec, s[14:15]
	ds_write_b64 v7, v[2:3] offset:12536
.LBB60_36:
	s_or_b64 exec, exec, s[16:17]
	s_waitcnt lgkmcnt(0)
	s_barrier
	s_and_saveexec_b64 s[14:15], s[10:11]
	s_cbranch_execz .LBB60_42
; %bb.37:
	v_lshlrev_b32_e32 v2, 5, v0
	v_lshlrev_b32_e32 v7, 3, v2
                                        ; implicit-def: $vgpr2_vgpr3
	s_and_saveexec_b64 s[10:11], s[12:13]
	s_xor_b64 s[10:11], exec, s[10:11]
	s_cbranch_execz .LBB60_39
; %bb.38:
	v_add_u32_e32 v2, 0x78, v7
	ds_read2st64_b64 v[8:11], v2 offset1:8
	v_add_u32_e32 v12, 0x2c00, v7
	ds_read_b64 v[2:3], v7 offset:16504
	ds_read_b64 v[16:17], v7 offset:8312
	ds_read2_b64 v[12:15], v12 offset0:127 offset1:159
	s_waitcnt lgkmcnt(3)
	v_mul_f32_e32 v18, v11, v11
	v_fmac_f32_e32 v18, v10, v10
	v_div_scale_f32 v19, s[16:17], v18, v18, 1.0
	v_rcp_f32_e32 v20, v19
	v_div_scale_f32 v21, vcc, 1.0, v18, 1.0
	v_fma_f32 v22, -v19, v20, 1.0
	v_fmac_f32_e32 v20, v22, v20
	v_mul_f32_e32 v22, v21, v20
	v_fma_f32 v23, -v19, v22, v21
	v_fmac_f32_e32 v22, v23, v20
	v_fma_f32 v19, -v19, v22, v21
	v_div_fmas_f32 v19, v19, v20, v22
	s_waitcnt lgkmcnt(0)
	v_pk_mul_f32 v[20:21], v[12:13], v[8:9] op_sel:[1,1] op_sel_hi:[1,0] neg_lo:[0,1]
	v_pk_fma_f32 v[8:9], v[8:9], v[12:13], v[20:21] op_sel_hi:[1,0,1]
	v_pk_add_f32 v[2:3], v[2:3], v[8:9] neg_lo:[0,1] neg_hi:[0,1]
	v_pk_mul_f32 v[8:9], v[14:15], v[16:17] op_sel:[1,1] op_sel_hi:[1,0] neg_lo:[0,1]
	v_pk_fma_f32 v[8:9], v[16:17], v[14:15], v[8:9] op_sel_hi:[1,0,1]
	v_pk_add_f32 v[2:3], v[2:3], v[8:9] neg_lo:[0,1] neg_hi:[0,1]
	v_pk_mul_f32 v[8:9], v[10:11], v[2:3] op_sel:[1,1] op_sel_hi:[1,0] neg_hi:[0,1]
	v_div_fixup_f32 v18, v19, v18, 1.0
	v_pk_fma_f32 v[2:3], v[2:3], v[10:11], v[8:9] op_sel_hi:[1,0,1]
	v_pk_mul_f32 v[2:3], v[18:19], v[2:3] op_sel_hi:[0,1]
.LBB60_39:
	s_andn2_saveexec_b64 s[10:11], s[10:11]
	s_cbranch_execz .LBB60_41
; %bb.40:
	v_add_u32_e32 v2, 0x78, v7
	ds_read2st64_b64 v[8:11], v2 offset0:8 offset1:16
	ds_read_b64 v[2:3], v7 offset:12536
	ds_read_b64 v[12:13], v7 offset:16504
	s_waitcnt lgkmcnt(2)
	v_mul_f32_e32 v16, v9, v9
	v_fmac_f32_e32 v16, v8, v8
	v_div_scale_f32 v17, s[16:17], v16, v16, 1.0
	v_rcp_f32_e32 v18, v17
	v_div_scale_f32 v19, vcc, 1.0, v16, 1.0
	s_waitcnt lgkmcnt(1)
	v_pk_mul_f32 v[14:15], v[2:3], v[10:11] op_sel:[1,1] op_sel_hi:[1,0] neg_lo:[0,1]
	v_fma_f32 v20, -v17, v18, 1.0
	v_fmac_f32_e32 v18, v20, v18
	v_mul_f32_e32 v20, v19, v18
	v_fma_f32 v21, -v17, v20, v19
	v_fmac_f32_e32 v20, v21, v18
	v_pk_fma_f32 v[2:3], v[10:11], v[2:3], v[14:15] op_sel_hi:[1,0,1]
	v_fma_f32 v17, -v17, v20, v19
	s_waitcnt lgkmcnt(0)
	v_pk_add_f32 v[2:3], v[12:13], v[2:3] neg_lo:[0,1] neg_hi:[0,1]
	v_div_fmas_f32 v17, v17, v18, v20
	v_pk_mul_f32 v[10:11], v[8:9], v[2:3] op_sel:[1,1] op_sel_hi:[1,0] neg_hi:[0,1]
	v_div_fixup_f32 v16, v17, v16, 1.0
	v_pk_fma_f32 v[2:3], v[2:3], v[8:9], v[10:11] op_sel_hi:[1,0,1]
	v_pk_mul_f32 v[2:3], v[16:17], v[2:3] op_sel_hi:[0,1]
.LBB60_41:
	s_or_b64 exec, exec, s[10:11]
	ds_write_b64 v7, v[2:3] offset:12408
.LBB60_42:
	s_or_b64 exec, exec, s[14:15]
	s_waitcnt lgkmcnt(0)
	s_barrier
	s_and_saveexec_b64 s[10:11], s[8:9]
	s_cbranch_execz .LBB60_48
; %bb.43:
	v_lshlrev_b32_e32 v2, 4, v0
	v_lshlrev_b32_e32 v7, 3, v2
                                        ; implicit-def: $vgpr2_vgpr3
	s_and_saveexec_b64 s[8:9], s[12:13]
	s_xor_b64 s[8:9], exec, s[8:9]
	s_cbranch_execz .LBB60_45
; %bb.44:
	v_add_u32_e32 v2, 56, v7
	ds_read2st64_b64 v[8:11], v2 offset1:8
	v_add_u32_e32 v12, 0x2c00, v7
	ds_read_b64 v[2:3], v7 offset:16440
	ds_read_b64 v[16:17], v7 offset:8248
	ds_read2_b64 v[12:15], v12 offset0:127 offset1:143
	s_waitcnt lgkmcnt(3)
	v_mul_f32_e32 v18, v11, v11
	v_fmac_f32_e32 v18, v10, v10
	v_div_scale_f32 v19, s[14:15], v18, v18, 1.0
	v_rcp_f32_e32 v20, v19
	v_div_scale_f32 v21, vcc, 1.0, v18, 1.0
	v_fma_f32 v22, -v19, v20, 1.0
	v_fmac_f32_e32 v20, v22, v20
	v_mul_f32_e32 v22, v21, v20
	v_fma_f32 v23, -v19, v22, v21
	v_fmac_f32_e32 v22, v23, v20
	v_fma_f32 v19, -v19, v22, v21
	v_div_fmas_f32 v19, v19, v20, v22
	s_waitcnt lgkmcnt(0)
	v_pk_mul_f32 v[20:21], v[12:13], v[8:9] op_sel:[1,1] op_sel_hi:[1,0] neg_lo:[0,1]
	v_pk_fma_f32 v[8:9], v[8:9], v[12:13], v[20:21] op_sel_hi:[1,0,1]
	v_pk_add_f32 v[2:3], v[2:3], v[8:9] neg_lo:[0,1] neg_hi:[0,1]
	v_pk_mul_f32 v[8:9], v[14:15], v[16:17] op_sel:[1,1] op_sel_hi:[1,0] neg_lo:[0,1]
	v_pk_fma_f32 v[8:9], v[16:17], v[14:15], v[8:9] op_sel_hi:[1,0,1]
	v_pk_add_f32 v[2:3], v[2:3], v[8:9] neg_lo:[0,1] neg_hi:[0,1]
	v_pk_mul_f32 v[8:9], v[10:11], v[2:3] op_sel:[1,1] op_sel_hi:[1,0] neg_hi:[0,1]
	v_div_fixup_f32 v18, v19, v18, 1.0
	v_pk_fma_f32 v[2:3], v[2:3], v[10:11], v[8:9] op_sel_hi:[1,0,1]
	v_pk_mul_f32 v[2:3], v[18:19], v[2:3] op_sel_hi:[0,1]
.LBB60_45:
	s_andn2_saveexec_b64 s[8:9], s[8:9]
	s_cbranch_execz .LBB60_47
; %bb.46:
	v_add_u32_e32 v2, 56, v7
	ds_read2st64_b64 v[8:11], v2 offset0:8 offset1:16
	ds_read_b64 v[2:3], v7 offset:12408
	ds_read_b64 v[12:13], v7 offset:16440
	s_waitcnt lgkmcnt(2)
	v_mul_f32_e32 v16, v9, v9
	v_fmac_f32_e32 v16, v8, v8
	v_div_scale_f32 v17, s[14:15], v16, v16, 1.0
	v_rcp_f32_e32 v18, v17
	v_div_scale_f32 v19, vcc, 1.0, v16, 1.0
	s_waitcnt lgkmcnt(1)
	v_pk_mul_f32 v[14:15], v[2:3], v[10:11] op_sel:[1,1] op_sel_hi:[1,0] neg_lo:[0,1]
	v_fma_f32 v20, -v17, v18, 1.0
	v_fmac_f32_e32 v18, v20, v18
	v_mul_f32_e32 v20, v19, v18
	v_fma_f32 v21, -v17, v20, v19
	v_fmac_f32_e32 v20, v21, v18
	v_pk_fma_f32 v[2:3], v[10:11], v[2:3], v[14:15] op_sel_hi:[1,0,1]
	v_fma_f32 v17, -v17, v20, v19
	s_waitcnt lgkmcnt(0)
	v_pk_add_f32 v[2:3], v[12:13], v[2:3] neg_lo:[0,1] neg_hi:[0,1]
	v_div_fmas_f32 v17, v17, v18, v20
	v_pk_mul_f32 v[10:11], v[8:9], v[2:3] op_sel:[1,1] op_sel_hi:[1,0] neg_hi:[0,1]
	v_div_fixup_f32 v16, v17, v16, 1.0
	v_pk_fma_f32 v[2:3], v[2:3], v[8:9], v[10:11] op_sel_hi:[1,0,1]
	v_pk_mul_f32 v[2:3], v[16:17], v[2:3] op_sel_hi:[0,1]
.LBB60_47:
	s_or_b64 exec, exec, s[8:9]
	ds_write_b64 v7, v[2:3] offset:12344
.LBB60_48:
	s_or_b64 exec, exec, s[10:11]
	s_waitcnt lgkmcnt(0)
	s_barrier
	s_and_saveexec_b64 s[8:9], s[20:21]
	s_cbranch_execz .LBB60_54
; %bb.49:
	v_lshlrev_b32_e32 v1, 3, v1
                                        ; implicit-def: $vgpr2_vgpr3
	s_and_saveexec_b64 s[10:11], s[12:13]
	s_xor_b64 s[10:11], exec, s[10:11]
	s_cbranch_execz .LBB60_51
; %bb.50:
	v_add_u32_e32 v2, 24, v1
	ds_read2st64_b64 v[8:11], v2 offset1:8
	v_add_u32_e32 v7, 0x2c00, v1
	ds_read_b64 v[2:3], v1 offset:16408
	ds_read_b64 v[16:17], v1 offset:8216
	ds_read2_b64 v[12:15], v7 offset0:127 offset1:135
	s_waitcnt lgkmcnt(3)
	v_mul_f32_e32 v18, v11, v11
	v_fmac_f32_e32 v18, v10, v10
	v_div_scale_f32 v19, s[14:15], v18, v18, 1.0
	v_rcp_f32_e32 v20, v19
	v_div_scale_f32 v7, vcc, 1.0, v18, 1.0
	v_fma_f32 v21, -v19, v20, 1.0
	v_fmac_f32_e32 v20, v21, v20
	v_mul_f32_e32 v21, v7, v20
	v_fma_f32 v22, -v19, v21, v7
	v_fmac_f32_e32 v21, v22, v20
	v_fma_f32 v7, -v19, v21, v7
	v_div_fmas_f32 v7, v7, v20, v21
	s_waitcnt lgkmcnt(0)
	v_pk_mul_f32 v[20:21], v[12:13], v[8:9] op_sel:[1,1] op_sel_hi:[1,0] neg_lo:[0,1]
	v_pk_fma_f32 v[8:9], v[8:9], v[12:13], v[20:21] op_sel_hi:[1,0,1]
	v_pk_add_f32 v[2:3], v[2:3], v[8:9] neg_lo:[0,1] neg_hi:[0,1]
	v_pk_mul_f32 v[8:9], v[14:15], v[16:17] op_sel:[1,1] op_sel_hi:[1,0] neg_lo:[0,1]
	v_pk_fma_f32 v[8:9], v[16:17], v[14:15], v[8:9] op_sel_hi:[1,0,1]
	v_pk_add_f32 v[2:3], v[2:3], v[8:9] neg_lo:[0,1] neg_hi:[0,1]
	v_pk_mul_f32 v[8:9], v[10:11], v[2:3] op_sel:[1,1] op_sel_hi:[1,0] neg_hi:[0,1]
	v_div_fixup_f32 v18, v7, v18, 1.0
	v_pk_fma_f32 v[2:3], v[2:3], v[10:11], v[8:9] op_sel_hi:[1,0,1]
	v_pk_mul_f32 v[2:3], v[18:19], v[2:3] op_sel_hi:[0,1]
.LBB60_51:
	s_andn2_saveexec_b64 s[10:11], s[10:11]
	s_cbranch_execz .LBB60_53
; %bb.52:
	v_add_u32_e32 v2, 24, v1
	ds_read2st64_b64 v[8:11], v2 offset0:8 offset1:16
	ds_read_b64 v[2:3], v1 offset:12344
	ds_read_b64 v[12:13], v1 offset:16408
	s_waitcnt lgkmcnt(2)
	v_mul_f32_e32 v7, v9, v9
	v_fmac_f32_e32 v7, v8, v8
	v_div_scale_f32 v16, s[14:15], v7, v7, 1.0
	v_rcp_f32_e32 v17, v16
	v_div_scale_f32 v18, vcc, 1.0, v7, 1.0
	s_waitcnt lgkmcnt(1)
	v_pk_mul_f32 v[14:15], v[2:3], v[10:11] op_sel:[1,1] op_sel_hi:[1,0] neg_lo:[0,1]
	v_fma_f32 v19, -v16, v17, 1.0
	v_fmac_f32_e32 v17, v19, v17
	v_mul_f32_e32 v19, v18, v17
	v_fma_f32 v20, -v16, v19, v18
	v_fmac_f32_e32 v19, v20, v17
	v_pk_fma_f32 v[2:3], v[10:11], v[2:3], v[14:15] op_sel_hi:[1,0,1]
	v_fma_f32 v16, -v16, v19, v18
	s_waitcnt lgkmcnt(0)
	v_pk_add_f32 v[2:3], v[12:13], v[2:3] neg_lo:[0,1] neg_hi:[0,1]
	v_div_fmas_f32 v16, v16, v17, v19
	v_pk_mul_f32 v[10:11], v[8:9], v[2:3] op_sel:[1,1] op_sel_hi:[1,0] neg_hi:[0,1]
	v_div_fixup_f32 v16, v16, v7, 1.0
	v_pk_fma_f32 v[2:3], v[2:3], v[8:9], v[10:11] op_sel_hi:[1,0,1]
	v_pk_mul_f32 v[2:3], v[16:17], v[2:3] op_sel_hi:[0,1]
.LBB60_53:
	s_or_b64 exec, exec, s[10:11]
	ds_write_b64 v1, v[2:3] offset:12312
.LBB60_54:
	s_or_b64 exec, exec, s[8:9]
	s_waitcnt lgkmcnt(0)
	s_barrier
	s_and_saveexec_b64 s[8:9], s[2:3]
	s_cbranch_execz .LBB60_60
; %bb.55:
	v_lshlrev_b32_e32 v1, 2, v0
	v_lshlrev_b32_e32 v1, 3, v1
                                        ; implicit-def: $vgpr2_vgpr3
	s_and_saveexec_b64 s[2:3], s[12:13]
	s_xor_b64 s[2:3], exec, s[2:3]
	s_cbranch_execz .LBB60_57
; %bb.56:
	v_add_u32_e32 v2, 8, v1
	ds_read2st64_b64 v[8:11], v2 offset1:8
	v_add_u32_e32 v7, 0x2c00, v1
	ds_read_b64 v[2:3], v1 offset:16392
	ds_read_b64 v[16:17], v1 offset:8200
	ds_read2_b64 v[12:15], v7 offset0:127 offset1:131
	s_waitcnt lgkmcnt(3)
	v_mul_f32_e32 v18, v11, v11
	v_fmac_f32_e32 v18, v10, v10
	v_div_scale_f32 v19, s[10:11], v18, v18, 1.0
	v_rcp_f32_e32 v20, v19
	v_div_scale_f32 v7, vcc, 1.0, v18, 1.0
	v_fma_f32 v21, -v19, v20, 1.0
	v_fmac_f32_e32 v20, v21, v20
	v_mul_f32_e32 v21, v7, v20
	v_fma_f32 v22, -v19, v21, v7
	v_fmac_f32_e32 v21, v22, v20
	v_fma_f32 v7, -v19, v21, v7
	v_div_fmas_f32 v7, v7, v20, v21
	s_waitcnt lgkmcnt(0)
	v_pk_mul_f32 v[20:21], v[12:13], v[8:9] op_sel:[1,1] op_sel_hi:[1,0] neg_lo:[0,1]
	v_pk_fma_f32 v[8:9], v[8:9], v[12:13], v[20:21] op_sel_hi:[1,0,1]
	v_pk_add_f32 v[2:3], v[2:3], v[8:9] neg_lo:[0,1] neg_hi:[0,1]
	v_pk_mul_f32 v[8:9], v[14:15], v[16:17] op_sel:[1,1] op_sel_hi:[1,0] neg_lo:[0,1]
	v_pk_fma_f32 v[8:9], v[16:17], v[14:15], v[8:9] op_sel_hi:[1,0,1]
	v_pk_add_f32 v[2:3], v[2:3], v[8:9] neg_lo:[0,1] neg_hi:[0,1]
	v_pk_mul_f32 v[8:9], v[10:11], v[2:3] op_sel:[1,1] op_sel_hi:[1,0] neg_hi:[0,1]
	v_div_fixup_f32 v18, v7, v18, 1.0
	v_pk_fma_f32 v[2:3], v[2:3], v[10:11], v[8:9] op_sel_hi:[1,0,1]
	v_pk_mul_f32 v[2:3], v[18:19], v[2:3] op_sel_hi:[0,1]
.LBB60_57:
	s_andn2_saveexec_b64 s[2:3], s[2:3]
	s_cbranch_execz .LBB60_59
; %bb.58:
	v_add_u32_e32 v2, 8, v1
	ds_read2st64_b64 v[8:11], v2 offset0:8 offset1:16
	ds_read_b64 v[2:3], v1 offset:12312
	ds_read_b64 v[12:13], v1 offset:16392
	s_waitcnt lgkmcnt(2)
	v_mul_f32_e32 v7, v9, v9
	v_fmac_f32_e32 v7, v8, v8
	v_div_scale_f32 v16, s[10:11], v7, v7, 1.0
	v_rcp_f32_e32 v17, v16
	v_div_scale_f32 v18, vcc, 1.0, v7, 1.0
	s_waitcnt lgkmcnt(1)
	v_pk_mul_f32 v[14:15], v[2:3], v[10:11] op_sel:[1,1] op_sel_hi:[1,0] neg_lo:[0,1]
	v_fma_f32 v19, -v16, v17, 1.0
	v_fmac_f32_e32 v17, v19, v17
	v_mul_f32_e32 v19, v18, v17
	v_fma_f32 v20, -v16, v19, v18
	v_fmac_f32_e32 v19, v20, v17
	v_pk_fma_f32 v[2:3], v[10:11], v[2:3], v[14:15] op_sel_hi:[1,0,1]
	v_fma_f32 v16, -v16, v19, v18
	s_waitcnt lgkmcnt(0)
	v_pk_add_f32 v[2:3], v[12:13], v[2:3] neg_lo:[0,1] neg_hi:[0,1]
	v_div_fmas_f32 v16, v16, v17, v19
	v_pk_mul_f32 v[10:11], v[8:9], v[2:3] op_sel:[1,1] op_sel_hi:[1,0] neg_hi:[0,1]
	v_div_fixup_f32 v16, v16, v7, 1.0
	v_pk_fma_f32 v[2:3], v[2:3], v[8:9], v[10:11] op_sel_hi:[1,0,1]
	v_pk_mul_f32 v[2:3], v[16:17], v[2:3] op_sel_hi:[0,1]
.LBB60_59:
	s_or_b64 exec, exec, s[2:3]
	ds_write_b64 v1, v[2:3] offset:12296
.LBB60_60:
	s_or_b64 exec, exec, s[8:9]
	s_waitcnt lgkmcnt(0)
	s_barrier
	s_and_saveexec_b64 s[2:3], s[0:1]
	s_cbranch_execz .LBB60_66
; %bb.61:
	v_lshlrev_b32_e32 v0, 1, v0
	v_lshlrev_b32_e32 v2, 3, v0
                                        ; implicit-def: $vgpr0_vgpr1
	s_and_saveexec_b64 s[0:1], s[12:13]
	s_xor_b64 s[0:1], exec, s[0:1]
	s_cbranch_execz .LBB60_63
; %bb.62:
	ds_read2st64_b64 v[8:11], v2 offset1:8
	v_add_u32_e32 v3, 0x2c00, v2
	ds_read_b64 v[0:1], v2 offset:16384
	ds_read_b64 v[16:17], v2 offset:8192
	ds_read2_b64 v[12:15], v3 offset0:127 offset1:129
	s_waitcnt lgkmcnt(3)
	v_mul_f32_e32 v7, v11, v11
	v_fmac_f32_e32 v7, v10, v10
	v_div_scale_f32 v18, s[8:9], v7, v7, 1.0
	v_rcp_f32_e32 v19, v18
	v_div_scale_f32 v3, vcc, 1.0, v7, 1.0
	v_fma_f32 v20, -v18, v19, 1.0
	v_fmac_f32_e32 v19, v20, v19
	v_mul_f32_e32 v20, v3, v19
	v_fma_f32 v21, -v18, v20, v3
	v_fmac_f32_e32 v20, v21, v19
	v_fma_f32 v3, -v18, v20, v3
	v_div_fmas_f32 v3, v3, v19, v20
	s_waitcnt lgkmcnt(0)
	v_pk_mul_f32 v[20:21], v[12:13], v[8:9] op_sel:[1,1] op_sel_hi:[1,0] neg_lo:[0,1]
	v_pk_fma_f32 v[8:9], v[8:9], v[12:13], v[20:21] op_sel_hi:[1,0,1]
	v_pk_add_f32 v[0:1], v[0:1], v[8:9] neg_lo:[0,1] neg_hi:[0,1]
	v_pk_mul_f32 v[8:9], v[14:15], v[16:17] op_sel:[1,1] op_sel_hi:[1,0] neg_lo:[0,1]
	v_pk_fma_f32 v[8:9], v[16:17], v[14:15], v[8:9] op_sel_hi:[1,0,1]
	v_pk_add_f32 v[0:1], v[0:1], v[8:9] neg_lo:[0,1] neg_hi:[0,1]
	v_pk_mul_f32 v[8:9], v[10:11], v[0:1] op_sel:[1,1] op_sel_hi:[1,0] neg_hi:[0,1]
	v_div_fixup_f32 v18, v3, v7, 1.0
	v_pk_fma_f32 v[0:1], v[0:1], v[10:11], v[8:9] op_sel_hi:[1,0,1]
	v_pk_mul_f32 v[0:1], v[18:19], v[0:1] op_sel_hi:[0,1]
.LBB60_63:
	s_andn2_saveexec_b64 s[0:1], s[0:1]
	s_cbranch_execz .LBB60_65
; %bb.64:
	ds_read2st64_b64 v[8:11], v2 offset0:8 offset1:16
	ds_read_b64 v[0:1], v2 offset:12296
	ds_read_b64 v[12:13], v2 offset:16384
	s_waitcnt lgkmcnt(2)
	v_mul_f32_e32 v3, v9, v9
	v_fmac_f32_e32 v3, v8, v8
	v_div_scale_f32 v7, s[8:9], v3, v3, 1.0
	v_rcp_f32_e32 v16, v7
	v_div_scale_f32 v17, vcc, 1.0, v3, 1.0
	s_waitcnt lgkmcnt(1)
	v_pk_mul_f32 v[14:15], v[0:1], v[10:11] op_sel:[1,1] op_sel_hi:[1,0] neg_lo:[0,1]
	v_fma_f32 v18, -v7, v16, 1.0
	v_fmac_f32_e32 v16, v18, v16
	v_mul_f32_e32 v18, v17, v16
	v_fma_f32 v19, -v7, v18, v17
	v_fmac_f32_e32 v18, v19, v16
	v_pk_fma_f32 v[0:1], v[10:11], v[0:1], v[14:15] op_sel_hi:[1,0,1]
	v_fma_f32 v7, -v7, v18, v17
	s_waitcnt lgkmcnt(0)
	v_pk_add_f32 v[0:1], v[12:13], v[0:1] neg_lo:[0,1] neg_hi:[0,1]
	v_div_fmas_f32 v7, v7, v16, v18
	v_pk_mul_f32 v[10:11], v[8:9], v[0:1] op_sel:[1,1] op_sel_hi:[1,0] neg_hi:[0,1]
	v_div_fixup_f32 v16, v7, v3, 1.0
	v_pk_fma_f32 v[0:1], v[0:1], v[8:9], v[10:11] op_sel_hi:[1,0,1]
	v_pk_mul_f32 v[0:1], v[16:17], v[0:1] op_sel_hi:[0,1]
.LBB60_65:
	s_or_b64 exec, exec, s[0:1]
	ds_write_b64 v2, v[0:1] offset:12288
.LBB60_66:
	s_or_b64 exec, exec, s[2:3]
	s_load_dword s0, s[4:5], 0x8
	s_waitcnt lgkmcnt(0)
	s_barrier
	ds_read2st64_b64 v[0:3], v6 offset1:4
	s_mul_i32 s7, s7, s0
	v_mov_b32_e32 v9, 0
	v_add_u32_e32 v8, s7, v4
	v_lshlrev_b64 v[10:11], 3, v[8:9]
	v_mov_b32_e32 v4, s23
	v_add_co_u32_e32 v6, vcc, s22, v10
	v_addc_co_u32_e32 v7, vcc, v4, v11, vcc
	v_add_u32_e32 v8, s7, v5
	s_waitcnt lgkmcnt(0)
	global_store_dwordx2 v[6:7], v[0:1], off
	v_lshlrev_b64 v[0:1], 3, v[8:9]
	v_add_co_u32_e32 v0, vcc, s22, v0
	v_addc_co_u32_e32 v1, vcc, v4, v1, vcc
	global_store_dwordx2 v[0:1], v[2:3], off
	s_endpgm
	.section	.rodata,"a",@progbits
	.p2align	6, 0x0
	.amdhsa_kernel _ZN9rocsparseL48gtsv_nopivot_strided_batch_cr_pow2_stage2_kernelILj256E21rocsparse_complex_numIfEEEviiiPKT0_S5_S5_S5_PS3_
		.amdhsa_group_segment_fixed_size 20480
		.amdhsa_private_segment_fixed_size 0
		.amdhsa_kernarg_size 312
		.amdhsa_user_sgpr_count 6
		.amdhsa_user_sgpr_private_segment_buffer 1
		.amdhsa_user_sgpr_dispatch_ptr 0
		.amdhsa_user_sgpr_queue_ptr 0
		.amdhsa_user_sgpr_kernarg_segment_ptr 1
		.amdhsa_user_sgpr_dispatch_id 0
		.amdhsa_user_sgpr_flat_scratch_init 0
		.amdhsa_user_sgpr_kernarg_preload_length 0
		.amdhsa_user_sgpr_kernarg_preload_offset 0
		.amdhsa_user_sgpr_private_segment_size 0
		.amdhsa_uses_dynamic_stack 0
		.amdhsa_system_sgpr_private_segment_wavefront_offset 0
		.amdhsa_system_sgpr_workgroup_id_x 1
		.amdhsa_system_sgpr_workgroup_id_y 1
		.amdhsa_system_sgpr_workgroup_id_z 0
		.amdhsa_system_sgpr_workgroup_info 0
		.amdhsa_system_vgpr_workitem_id 0
		.amdhsa_next_free_vgpr 30
		.amdhsa_next_free_sgpr 28
		.amdhsa_accum_offset 32
		.amdhsa_reserve_vcc 1
		.amdhsa_reserve_flat_scratch 0
		.amdhsa_float_round_mode_32 0
		.amdhsa_float_round_mode_16_64 0
		.amdhsa_float_denorm_mode_32 3
		.amdhsa_float_denorm_mode_16_64 3
		.amdhsa_dx10_clamp 1
		.amdhsa_ieee_mode 1
		.amdhsa_fp16_overflow 0
		.amdhsa_tg_split 0
		.amdhsa_exception_fp_ieee_invalid_op 0
		.amdhsa_exception_fp_denorm_src 0
		.amdhsa_exception_fp_ieee_div_zero 0
		.amdhsa_exception_fp_ieee_overflow 0
		.amdhsa_exception_fp_ieee_underflow 0
		.amdhsa_exception_fp_ieee_inexact 0
		.amdhsa_exception_int_div_zero 0
	.end_amdhsa_kernel
	.section	.text._ZN9rocsparseL48gtsv_nopivot_strided_batch_cr_pow2_stage2_kernelILj256E21rocsparse_complex_numIfEEEviiiPKT0_S5_S5_S5_PS3_,"axG",@progbits,_ZN9rocsparseL48gtsv_nopivot_strided_batch_cr_pow2_stage2_kernelILj256E21rocsparse_complex_numIfEEEviiiPKT0_S5_S5_S5_PS3_,comdat
.Lfunc_end60:
	.size	_ZN9rocsparseL48gtsv_nopivot_strided_batch_cr_pow2_stage2_kernelILj256E21rocsparse_complex_numIfEEEviiiPKT0_S5_S5_S5_PS3_, .Lfunc_end60-_ZN9rocsparseL48gtsv_nopivot_strided_batch_cr_pow2_stage2_kernelILj256E21rocsparse_complex_numIfEEEviiiPKT0_S5_S5_S5_PS3_
                                        ; -- End function
	.section	.AMDGPU.csdata,"",@progbits
; Kernel info:
; codeLenInByte = 8512
; NumSgprs: 32
; NumVgprs: 30
; NumAgprs: 0
; TotalNumVgprs: 30
; ScratchSize: 0
; MemoryBound: 0
; FloatMode: 240
; IeeeMode: 1
; LDSByteSize: 20480 bytes/workgroup (compile time only)
; SGPRBlocks: 3
; VGPRBlocks: 3
; NumSGPRsForWavesPerEU: 32
; NumVGPRsForWavesPerEU: 30
; AccumOffset: 32
; Occupancy: 3
; WaveLimiterHint : 0
; COMPUTE_PGM_RSRC2:SCRATCH_EN: 0
; COMPUTE_PGM_RSRC2:USER_SGPR: 6
; COMPUTE_PGM_RSRC2:TRAP_HANDLER: 0
; COMPUTE_PGM_RSRC2:TGID_X_EN: 1
; COMPUTE_PGM_RSRC2:TGID_Y_EN: 1
; COMPUTE_PGM_RSRC2:TGID_Z_EN: 0
; COMPUTE_PGM_RSRC2:TIDIG_COMP_CNT: 0
; COMPUTE_PGM_RSRC3_GFX90A:ACCUM_OFFSET: 7
; COMPUTE_PGM_RSRC3_GFX90A:TG_SPLIT: 0
	.section	.text._ZN9rocsparseL44gtsv_nopivot_strided_batch_pcr_stage1_kernelILj256E21rocsparse_complex_numIfEEEviiiiPKT0_S5_S5_S5_PS3_S6_S6_S6_,"axG",@progbits,_ZN9rocsparseL44gtsv_nopivot_strided_batch_pcr_stage1_kernelILj256E21rocsparse_complex_numIfEEEviiiiPKT0_S5_S5_S5_PS3_S6_S6_S6_,comdat
	.globl	_ZN9rocsparseL44gtsv_nopivot_strided_batch_pcr_stage1_kernelILj256E21rocsparse_complex_numIfEEEviiiiPKT0_S5_S5_S5_PS3_S6_S6_S6_ ; -- Begin function _ZN9rocsparseL44gtsv_nopivot_strided_batch_pcr_stage1_kernelILj256E21rocsparse_complex_numIfEEEviiiiPKT0_S5_S5_S5_PS3_S6_S6_S6_
	.p2align	8
	.type	_ZN9rocsparseL44gtsv_nopivot_strided_batch_pcr_stage1_kernelILj256E21rocsparse_complex_numIfEEEviiiiPKT0_S5_S5_S5_PS3_S6_S6_S6_,@function
_ZN9rocsparseL44gtsv_nopivot_strided_batch_pcr_stage1_kernelILj256E21rocsparse_complex_numIfEEEviiiiPKT0_S5_S5_S5_PS3_S6_S6_S6_: ; @_ZN9rocsparseL44gtsv_nopivot_strided_batch_pcr_stage1_kernelILj256E21rocsparse_complex_numIfEEEviiiiPKT0_S5_S5_S5_PS3_S6_S6_S6_
; %bb.0:
	s_load_dwordx2 s[0:1], s[4:5], 0x0
	v_lshl_or_b32 v0, s6, 8, v0
	s_waitcnt lgkmcnt(0)
	v_cmp_gt_i32_e32 vcc, s1, v0
	s_and_saveexec_b64 s[2:3], vcc
	s_cbranch_execz .LBB61_2
; %bb.1:
	s_load_dword s3, s[4:5], 0xc
	s_load_dwordx8 s[8:15], s[4:5], 0x30
	s_load_dwordx8 s[16:23], s[4:5], 0x10
	s_mul_i32 s2, s7, s1
	v_subrev_u32_e32 v1, s0, v0
	s_waitcnt lgkmcnt(0)
	s_mul_i32 s4, s7, s3
	s_ashr_i32 s5, s4, 31
	s_lshl_b64 s[24:25], s[4:5], 3
	s_add_u32 s16, s16, s24
	s_addc_u32 s17, s17, s25
	s_ashr_i32 s3, s2, 31
	s_lshl_b64 s[26:27], s[2:3], 3
	s_add_u32 s2, s8, s26
	s_addc_u32 s3, s9, s27
	s_add_u32 s18, s18, s24
	s_addc_u32 s19, s19, s25
	s_add_u32 s7, s10, s26
	v_max_i32_e32 v2, 0, v1
	v_mov_b32_e32 v3, 0
	s_addc_u32 s9, s11, s27
	v_lshlrev_b64 v[2:3], 3, v[2:3]
	s_add_u32 s10, s20, s24
	v_mov_b32_e32 v1, s19
	v_add_co_u32_e32 v4, vcc, s18, v2
	s_addc_u32 s11, s21, s25
	v_addc_co_u32_e32 v5, vcc, v1, v3, vcc
	s_add_u32 s4, s12, s26
	global_load_dwordx2 v[4:5], v[4:5], off
	s_addc_u32 s5, s13, s27
	s_add_u32 s12, s22, s24
	s_addc_u32 s13, s23, s25
	s_add_u32 s6, s14, s26
	s_addc_u32 s8, s15, s27
	v_add_u32_e32 v1, s0, v0
	s_add_i32 s0, s1, -1
	v_mov_b32_e32 v6, s0
	v_cmp_gt_i32_e32 vcc, s1, v1
	v_cndmask_b32_e32 v6, v6, v1, vcc
	v_ashrrev_i32_e32 v1, 31, v0
	v_lshlrev_b64 v[0:1], 3, v[0:1]
	v_mov_b32_e32 v7, s17
	v_add_co_u32_e32 v8, vcc, s16, v0
	v_addc_co_u32_e32 v9, vcc, v7, v1, vcc
	v_ashrrev_i32_e32 v7, 31, v6
	v_lshlrev_b64 v[6:7], 3, v[6:7]
	v_mov_b32_e32 v11, s19
	v_add_co_u32_e32 v10, vcc, s18, v6
	v_addc_co_u32_e32 v11, vcc, v11, v7, vcc
	global_load_dwordx2 v[10:11], v[10:11], off
	v_mov_b32_e32 v13, s11
	global_load_dwordx2 v[8:9], v[8:9], off
	v_add_co_u32_e32 v12, vcc, s10, v0
	v_addc_co_u32_e32 v13, vcc, v13, v1, vcc
	v_mov_b32_e32 v15, s13
	v_add_co_u32_e32 v14, vcc, s12, v6
	v_addc_co_u32_e32 v15, vcc, v15, v7, vcc
	v_mov_b32_e32 v17, s19
	v_add_co_u32_e32 v16, vcc, s18, v0
	global_load_dwordx2 v[12:13], v[12:13], off
	v_addc_co_u32_e32 v17, vcc, v17, v1, vcc
	v_mov_b32_e32 v19, s11
	v_add_co_u32_e32 v18, vcc, s10, v2
	v_addc_co_u32_e32 v19, vcc, v19, v3, vcc
	global_load_dwordx2 v[20:21], v[18:19], off
	global_load_dwordx2 v[22:23], v[16:17], off
	v_mov_b32_e32 v17, s17
	v_add_co_u32_e32 v16, vcc, s16, v6
	v_addc_co_u32_e32 v17, vcc, v17, v7, vcc
	v_mov_b32_e32 v24, s13
	global_load_dwordx2 v[16:17], v[16:17], off
	v_add_co_u32_e32 v18, vcc, s12, v2
	v_addc_co_u32_e32 v19, vcc, v24, v3, vcc
	v_mov_b32_e32 v25, s13
	v_add_co_u32_e32 v24, vcc, s12, v0
	global_load_dwordx2 v[18:19], v[18:19], off
	v_addc_co_u32_e32 v25, vcc, v25, v1, vcc
	global_load_dwordx2 v[26:27], v[24:25], off
	global_load_dwordx2 v[28:29], v[14:15], off
	v_mov_b32_e32 v15, s17
	v_add_co_u32_e32 v2, vcc, s16, v2
	v_addc_co_u32_e32 v3, vcc, v15, v3, vcc
	global_load_dwordx2 v[2:3], v[2:3], off
	v_mov_b32_e32 v25, s11
	v_add_co_u32_e32 v6, vcc, s10, v6
	v_addc_co_u32_e32 v7, vcc, v25, v7, vcc
	global_load_dwordx2 v[6:7], v[6:7], off
	s_waitcnt vmcnt(11)
	v_mul_f32_e32 v14, v5, v5
	v_fmac_f32_e32 v14, v4, v4
	v_div_scale_f32 v15, s[0:1], v14, v14, 1.0
	v_rcp_f32_e32 v24, v15
	v_fma_f32 v25, -v15, v24, 1.0
	v_fmac_f32_e32 v24, v25, v24
	v_div_scale_f32 v25, vcc, 1.0, v14, 1.0
	v_mul_f32_e32 v30, v25, v24
	v_fma_f32 v31, -v15, v30, v25
	v_fmac_f32_e32 v30, v31, v24
	v_fma_f32 v15, -v15, v30, v25
	v_div_fmas_f32 v15, v15, v24, v30
	v_div_fixup_f32 v15, v15, v14, 1.0
	s_waitcnt vmcnt(10)
	v_mul_f32_e32 v24, v11, v11
	v_fmac_f32_e32 v24, v10, v10
	v_div_scale_f32 v25, s[0:1], v24, v24, 1.0
	v_rcp_f32_e32 v30, v25
	s_waitcnt vmcnt(9)
	v_mul_f32_e32 v14, v5, v9
	v_mul_f32_e64 v5, v5, -v8
	v_fmac_f32_e32 v5, v9, v4
	v_fmac_f32_e32 v14, v8, v4
	v_mul_f32_e32 v4, v5, v15
	v_fma_f32 v5, -v25, v30, 1.0
	v_fmac_f32_e32 v30, v5, v30
	v_div_scale_f32 v5, vcc, 1.0, v24, 1.0
	v_mul_f32_e32 v8, v5, v30
	v_fma_f32 v9, -v25, v8, v5
	v_fmac_f32_e32 v8, v9, v30
	v_fma_f32 v5, -v25, v8, v5
	v_div_fmas_f32 v5, v5, v30, v8
	s_waitcnt vmcnt(8)
	v_mul_f32_e32 v8, v11, v13
	v_mul_f32_e64 v9, v11, -v12
	v_div_fixup_f32 v5, v5, v24, 1.0
	v_fmac_f32_e32 v8, v12, v10
	v_fmac_f32_e32 v9, v13, v10
	v_mul_f32_e32 v8, v5, v8
	v_mul_f32_e32 v10, v9, v5
	v_mov_b32_e32 v5, s9
	v_mul_f32_e32 v14, v15, v14
	s_waitcnt vmcnt(7)
	v_pk_mul_f32 v[24:25], v[4:5], v[20:21] op_sel:[0,1] op_sel_hi:[0,0] neg_lo:[0,1]
	v_pk_fma_f32 v[20:21], v[20:21], v[14:15], v[24:25] op_sel_hi:[1,0,1]
	s_waitcnt vmcnt(6)
	v_pk_add_f32 v[20:21], v[22:23], v[20:21] neg_lo:[0,1] neg_hi:[0,1]
	s_waitcnt vmcnt(5)
	v_pk_mul_f32 v[22:23], v[10:11], v[16:17] op_sel:[0,1] op_sel_hi:[0,0] neg_lo:[0,1]
	v_add_co_u32_e32 v12, vcc, s7, v0
	v_pk_fma_f32 v[16:17], v[16:17], v[8:9], v[22:23] op_sel_hi:[1,0,1]
	v_addc_co_u32_e32 v13, vcc, v5, v1, vcc
	v_pk_add_f32 v[16:17], v[20:21], v[16:17] neg_lo:[0,1] neg_hi:[0,1]
	v_mov_b32_e32 v5, s8
	global_store_dwordx2 v[12:13], v[16:17], off
	s_waitcnt vmcnt(5)
	v_pk_mul_f32 v[16:17], v[4:5], v[18:19] op_sel:[0,1] op_sel_hi:[0,0] neg_lo:[0,1]
	v_pk_fma_f32 v[16:17], v[18:19], v[14:15], v[16:17] op_sel_hi:[1,0,1]
	s_waitcnt vmcnt(3)
	v_pk_mul_f32 v[18:19], v[10:11], v[28:29] op_sel:[0,1] op_sel_hi:[0,0] neg_lo:[0,1]
	v_add_co_u32_e32 v12, vcc, s6, v0
	v_pk_add_f32 v[16:17], v[26:27], v[16:17] neg_lo:[0,1] neg_hi:[0,1]
	v_pk_fma_f32 v[18:19], v[28:29], v[8:9], v[18:19] op_sel_hi:[1,0,1]
	v_addc_co_u32_e32 v13, vcc, v5, v1, vcc
	v_pk_add_f32 v[16:17], v[16:17], v[18:19] neg_lo:[0,1] neg_hi:[0,1]
	global_store_dwordx2 v[12:13], v[16:17], off
	v_mov_b32_e32 v5, s3
	v_add_co_u32_e32 v12, vcc, s2, v0
	v_addc_co_u32_e32 v13, vcc, v5, v1, vcc
	s_waitcnt vmcnt(3)
	v_pk_mul_f32 v[4:5], v[4:5], v[2:3] op_sel:[0,1] op_sel_hi:[0,0] neg_hi:[0,1]
	v_pk_fma_f32 v[2:3], v[2:3], v[14:15], v[4:5] op_sel_hi:[1,0,1] neg_lo:[1,0,0] neg_hi:[1,0,0]
	global_store_dwordx2 v[12:13], v[2:3], off
	v_mov_b32_e32 v2, s5
	v_add_co_u32_e32 v0, vcc, s4, v0
	v_addc_co_u32_e32 v1, vcc, v2, v1, vcc
	s_waitcnt vmcnt(3)
	v_pk_mul_f32 v[2:3], v[10:11], v[6:7] op_sel:[0,1] op_sel_hi:[0,0] neg_hi:[0,1]
	v_pk_fma_f32 v[2:3], v[6:7], v[8:9], v[2:3] op_sel_hi:[1,0,1] neg_lo:[1,0,0] neg_hi:[1,0,0]
	global_store_dwordx2 v[0:1], v[2:3], off
.LBB61_2:
	s_endpgm
	.section	.rodata,"a",@progbits
	.p2align	6, 0x0
	.amdhsa_kernel _ZN9rocsparseL44gtsv_nopivot_strided_batch_pcr_stage1_kernelILj256E21rocsparse_complex_numIfEEEviiiiPKT0_S5_S5_S5_PS3_S6_S6_S6_
		.amdhsa_group_segment_fixed_size 0
		.amdhsa_private_segment_fixed_size 0
		.amdhsa_kernarg_size 80
		.amdhsa_user_sgpr_count 6
		.amdhsa_user_sgpr_private_segment_buffer 1
		.amdhsa_user_sgpr_dispatch_ptr 0
		.amdhsa_user_sgpr_queue_ptr 0
		.amdhsa_user_sgpr_kernarg_segment_ptr 1
		.amdhsa_user_sgpr_dispatch_id 0
		.amdhsa_user_sgpr_flat_scratch_init 0
		.amdhsa_user_sgpr_kernarg_preload_length 0
		.amdhsa_user_sgpr_kernarg_preload_offset 0
		.amdhsa_user_sgpr_private_segment_size 0
		.amdhsa_uses_dynamic_stack 0
		.amdhsa_system_sgpr_private_segment_wavefront_offset 0
		.amdhsa_system_sgpr_workgroup_id_x 1
		.amdhsa_system_sgpr_workgroup_id_y 1
		.amdhsa_system_sgpr_workgroup_id_z 0
		.amdhsa_system_sgpr_workgroup_info 0
		.amdhsa_system_vgpr_workitem_id 0
		.amdhsa_next_free_vgpr 32
		.amdhsa_next_free_sgpr 28
		.amdhsa_accum_offset 32
		.amdhsa_reserve_vcc 1
		.amdhsa_reserve_flat_scratch 0
		.amdhsa_float_round_mode_32 0
		.amdhsa_float_round_mode_16_64 0
		.amdhsa_float_denorm_mode_32 3
		.amdhsa_float_denorm_mode_16_64 3
		.amdhsa_dx10_clamp 1
		.amdhsa_ieee_mode 1
		.amdhsa_fp16_overflow 0
		.amdhsa_tg_split 0
		.amdhsa_exception_fp_ieee_invalid_op 0
		.amdhsa_exception_fp_denorm_src 0
		.amdhsa_exception_fp_ieee_div_zero 0
		.amdhsa_exception_fp_ieee_overflow 0
		.amdhsa_exception_fp_ieee_underflow 0
		.amdhsa_exception_fp_ieee_inexact 0
		.amdhsa_exception_int_div_zero 0
	.end_amdhsa_kernel
	.section	.text._ZN9rocsparseL44gtsv_nopivot_strided_batch_pcr_stage1_kernelILj256E21rocsparse_complex_numIfEEEviiiiPKT0_S5_S5_S5_PS3_S6_S6_S6_,"axG",@progbits,_ZN9rocsparseL44gtsv_nopivot_strided_batch_pcr_stage1_kernelILj256E21rocsparse_complex_numIfEEEviiiiPKT0_S5_S5_S5_PS3_S6_S6_S6_,comdat
.Lfunc_end61:
	.size	_ZN9rocsparseL44gtsv_nopivot_strided_batch_pcr_stage1_kernelILj256E21rocsparse_complex_numIfEEEviiiiPKT0_S5_S5_S5_PS3_S6_S6_S6_, .Lfunc_end61-_ZN9rocsparseL44gtsv_nopivot_strided_batch_pcr_stage1_kernelILj256E21rocsparse_complex_numIfEEEviiiiPKT0_S5_S5_S5_PS3_S6_S6_S6_
                                        ; -- End function
	.section	.AMDGPU.csdata,"",@progbits
; Kernel info:
; codeLenInByte = 924
; NumSgprs: 32
; NumVgprs: 32
; NumAgprs: 0
; TotalNumVgprs: 32
; ScratchSize: 0
; MemoryBound: 0
; FloatMode: 240
; IeeeMode: 1
; LDSByteSize: 0 bytes/workgroup (compile time only)
; SGPRBlocks: 3
; VGPRBlocks: 3
; NumSGPRsForWavesPerEU: 32
; NumVGPRsForWavesPerEU: 32
; AccumOffset: 32
; Occupancy: 8
; WaveLimiterHint : 0
; COMPUTE_PGM_RSRC2:SCRATCH_EN: 0
; COMPUTE_PGM_RSRC2:USER_SGPR: 6
; COMPUTE_PGM_RSRC2:TRAP_HANDLER: 0
; COMPUTE_PGM_RSRC2:TGID_X_EN: 1
; COMPUTE_PGM_RSRC2:TGID_Y_EN: 1
; COMPUTE_PGM_RSRC2:TGID_Z_EN: 0
; COMPUTE_PGM_RSRC2:TIDIG_COMP_CNT: 0
; COMPUTE_PGM_RSRC3_GFX90A:ACCUM_OFFSET: 7
; COMPUTE_PGM_RSRC3_GFX90A:TG_SPLIT: 0
	.section	.text._ZN9rocsparseL44gtsv_nopivot_strided_batch_pcr_stage2_kernelILj512E21rocsparse_complex_numIfEEEviiiPKT0_S5_S5_S5_PS3_,"axG",@progbits,_ZN9rocsparseL44gtsv_nopivot_strided_batch_pcr_stage2_kernelILj512E21rocsparse_complex_numIfEEEviiiPKT0_S5_S5_S5_PS3_,comdat
	.globl	_ZN9rocsparseL44gtsv_nopivot_strided_batch_pcr_stage2_kernelILj512E21rocsparse_complex_numIfEEEviiiPKT0_S5_S5_S5_PS3_ ; -- Begin function _ZN9rocsparseL44gtsv_nopivot_strided_batch_pcr_stage2_kernelILj512E21rocsparse_complex_numIfEEEviiiPKT0_S5_S5_S5_PS3_
	.p2align	8
	.type	_ZN9rocsparseL44gtsv_nopivot_strided_batch_pcr_stage2_kernelILj512E21rocsparse_complex_numIfEEEviiiPKT0_S5_S5_S5_PS3_,@function
_ZN9rocsparseL44gtsv_nopivot_strided_batch_pcr_stage2_kernelILj512E21rocsparse_complex_numIfEEEviiiPKT0_S5_S5_S5_PS3_: ; @_ZN9rocsparseL44gtsv_nopivot_strided_batch_pcr_stage2_kernelILj512E21rocsparse_complex_numIfEEEviiiPKT0_S5_S5_S5_PS3_
; %bb.0:
	s_load_dword s0, s[4:5], 0x38
	s_load_dword s1, s[4:5], 0x0
	s_load_dwordx8 s[8:15], s[4:5], 0x10
	v_max_i32_e32 v12, 1, v0
	v_lshlrev_b32_e32 v24, 3, v12
	s_waitcnt lgkmcnt(0)
	v_mul_lo_u32 v1, s0, v0
	s_mul_i32 s2, s7, s1
	s_add_i32 s3, s6, s1
	s_add_i32 s3, s3, s2
	v_add_u32_e32 v1, s6, v1
	s_sub_i32 s0, s3, s0
	v_add_u32_e32 v2, s2, v1
	v_mov_b32_e32 v3, s0
	v_cmp_gt_i32_e64 s[0:1], s1, v1
	v_cndmask_b32_e64 v2, v3, v2, s[0:1]
	v_mov_b32_e32 v3, 0
	v_lshlrev_b64 v[2:3], 3, v[2:3]
	v_mov_b32_e32 v5, s9
	v_add_co_u32_e32 v4, vcc, s8, v2
	v_addc_co_u32_e32 v5, vcc, v5, v3, vcc
	v_mov_b32_e32 v7, s11
	v_add_co_u32_e32 v6, vcc, s10, v2
	v_addc_co_u32_e32 v7, vcc, v7, v3, vcc
	v_mov_b32_e32 v9, s13
	v_add_co_u32_e32 v8, vcc, s12, v2
	v_addc_co_u32_e32 v9, vcc, v9, v3, vcc
	v_mov_b32_e32 v10, s15
	v_add_co_u32_e32 v2, vcc, s14, v2
	global_load_dwordx2 v[4:5], v[4:5], off
	v_addc_co_u32_e32 v3, vcc, v10, v3, vcc
	global_load_dwordx2 v[6:7], v[6:7], off
	v_add_u32_e32 v26, -8, v24
	global_load_dwordx2 v[8:9], v[8:9], off
	v_add_u32_e32 v12, 0x1f8, v24
	global_load_dwordx2 v[10:11], v[2:3], off
	v_min_u32_e32 v3, 0x1fe, v0
	v_lshlrev_b32_e32 v2, 3, v0
	v_lshlrev_b32_e32 v3, 3, v3
	v_add_u32_e32 v3, 8, v3
	s_movk_i32 s6, 0x100
	s_waitcnt vmcnt(2)
	ds_write2st64_b64 v2, v[4:5], v[6:7] offset1:8
	s_waitcnt vmcnt(0)
	ds_write2st64_b64 v2, v[8:9], v[10:11] offset0:16 offset1:32
	s_waitcnt lgkmcnt(0)
	s_barrier
	ds_read2st64_b64 v[4:7], v2 offset1:8
	ds_read2st64_b64 v[8:11], v12 offset0:7 offset1:15
	ds_read2st64_b64 v[12:15], v2 offset0:16 offset1:32
	ds_read2st64_b64 v[16:19], v3 offset1:8
	ds_read2st64_b64 v[20:23], v3 offset0:16 offset1:32
	ds_read_b64 v[24:25], v24 offset:16376
	ds_read_b64 v[26:27], v26
	s_waitcnt lgkmcnt(5)
	v_mul_f32_e32 v3, v9, v9
	v_mul_f32_e32 v28, v9, v5
	s_waitcnt lgkmcnt(3)
	v_mul_f32_e32 v29, v19, v19
	v_fmac_f32_e32 v3, v8, v8
	v_mul_f32_e64 v9, v9, -v4
	v_mul_f32_e32 v30, v19, v13
	v_fmac_f32_e32 v28, v4, v8
	v_fmac_f32_e32 v29, v18, v18
	v_div_scale_f32 v4, s[2:3], v3, v3, 1.0
	v_mul_f32_e64 v19, v19, -v12
	v_fmac_f32_e32 v9, v5, v8
	v_fmac_f32_e32 v30, v12, v18
	v_div_scale_f32 v8, s[2:3], v29, v29, 1.0
	v_rcp_f32_e32 v12, v4
	v_fmac_f32_e32 v19, v13, v18
	v_rcp_f32_e32 v13, v8
	v_div_scale_f32 v5, vcc, 1.0, v3, 1.0
	v_fma_f32 v31, -v4, v12, 1.0
	v_fma_f32 v32, -v8, v13, 1.0
	v_fmac_f32_e32 v12, v31, v12
	v_div_scale_f32 v18, s[2:3], 1.0, v29, 1.0
	v_fmac_f32_e32 v13, v32, v13
	v_mul_f32_e32 v31, v5, v12
	v_mul_f32_e32 v32, v18, v13
	v_fma_f32 v33, -v4, v31, v5
	v_fma_f32 v34, -v8, v32, v18
	v_fmac_f32_e32 v31, v33, v12
	v_fmac_f32_e32 v32, v34, v13
	v_fma_f32 v4, -v4, v31, v5
	v_fma_f32 v5, -v8, v32, v18
	v_div_fmas_f32 v4, v4, v12, v31
	s_mov_b64 vcc, s[2:3]
	v_div_fixup_f32 v3, v4, v3, 1.0
	v_div_fmas_f32 v5, v5, v13, v32
	v_mul_f32_e32 v4, v3, v28
	v_mul_f32_e32 v8, v9, v3
	v_div_fixup_f32 v3, v5, v29, 1.0
	v_mul_f32_e32 v18, v19, v3
	v_pk_mul_f32 v[28:29], v[8:9], v[10:11] op_sel:[0,1] op_sel_hi:[0,0] neg_lo:[0,1]
	v_mul_f32_e32 v12, v3, v30
	s_waitcnt lgkmcnt(1)
	v_pk_mul_f32 v[30:31], v[8:9], v[24:25] op_sel:[0,1] op_sel_hi:[0,0] neg_lo:[0,1]
	v_pk_fma_f32 v[10:11], v[10:11], v[4:5], v[28:29] op_sel_hi:[1,0,1]
	v_pk_mul_f32 v[28:29], v[18:19], v[16:17] op_sel:[0,1] op_sel_hi:[0,0] neg_lo:[0,1]
	v_pk_fma_f32 v[24:25], v[24:25], v[4:5], v[30:31] op_sel_hi:[1,0,1]
	v_pk_mul_f32 v[30:31], v[18:19], v[22:23] op_sel:[0,1] op_sel_hi:[0,0] neg_lo:[0,1]
	v_pk_add_f32 v[6:7], v[6:7], v[10:11] neg_lo:[0,1] neg_hi:[0,1]
	v_pk_fma_f32 v[10:11], v[16:17], v[12:13], v[28:29] op_sel_hi:[1,0,1]
	s_waitcnt lgkmcnt(0)
	v_pk_mul_f32 v[8:9], v[8:9], v[26:27] op_sel:[0,1] op_sel_hi:[0,0] neg_hi:[0,1]
	v_max_i32_e32 v3, 2, v0
	v_pk_add_f32 v[14:15], v[14:15], v[24:25] neg_lo:[0,1] neg_hi:[0,1]
	v_pk_fma_f32 v[16:17], v[22:23], v[12:13], v[30:31] op_sel_hi:[1,0,1]
	v_pk_add_f32 v[6:7], v[6:7], v[10:11] neg_lo:[0,1] neg_hi:[0,1]
	v_pk_fma_f32 v[4:5], v[26:27], v[4:5], v[8:9] op_sel_hi:[1,0,1] neg_lo:[1,0,0] neg_hi:[1,0,0]
	v_pk_mul_f32 v[8:9], v[18:19], v[20:21] op_sel:[0,1] op_sel_hi:[0,0] neg_hi:[0,1]
	v_lshlrev_b32_e32 v3, 3, v3
	v_pk_add_f32 v[10:11], v[14:15], v[16:17] neg_lo:[0,1] neg_hi:[0,1]
	v_pk_fma_f32 v[8:9], v[20:21], v[12:13], v[8:9] op_sel_hi:[1,0,1] neg_lo:[1,0,0] neg_hi:[1,0,0]
	s_barrier
	ds_write2st64_b64 v2, v[4:5], v[6:7] offset1:8
	ds_write2st64_b64 v2, v[8:9], v[10:11] offset0:16 offset1:32
	v_add_u32_e32 v4, 0x1f0, v3
	s_waitcnt lgkmcnt(0)
	s_barrier
	ds_read2st64_b64 v[4:7], v4 offset0:7 offset1:15
	v_min_u32_e32 v15, 0x1fd, v0
	ds_read2st64_b64 v[8:11], v2 offset1:8
	v_add_u32_e32 v21, -16, v3
	s_waitcnt lgkmcnt(1)
	v_mul_f32_e32 v12, v5, v5
	v_fmac_f32_e32 v12, v4, v4
	v_div_scale_f32 v13, s[2:3], v12, v12, 1.0
	v_rcp_f32_e32 v14, v13
	v_fma_f32 v16, -v13, v14, 1.0
	v_fmac_f32_e32 v14, v16, v14
	v_div_scale_f32 v16, vcc, 1.0, v12, 1.0
	v_mul_f32_e32 v17, v16, v14
	v_fma_f32 v18, -v13, v17, v16
	v_fmac_f32_e32 v17, v18, v14
	v_fma_f32 v13, -v13, v17, v16
	v_div_fmas_f32 v13, v13, v14, v17
	v_div_fixup_f32 v16, v13, v12, 1.0
	v_lshlrev_b32_e32 v12, 3, v15
	v_add_u32_e32 v23, 16, v12
	ds_read2st64_b64 v[12:15], v23 offset1:8
	s_waitcnt lgkmcnt(1)
	v_mul_f32_e32 v17, v5, v9
	v_fmac_f32_e32 v17, v8, v4
	v_mul_f32_e64 v5, v5, -v8
	v_fmac_f32_e32 v5, v9, v4
	s_waitcnt lgkmcnt(0)
	v_mul_f32_e32 v8, v15, v15
	v_fmac_f32_e32 v8, v14, v14
	v_div_scale_f32 v22, s[2:3], v8, v8, 1.0
	v_rcp_f32_e32 v24, v22
	v_mul_f32_e32 v4, v5, v16
	v_mul_f32_e32 v20, v16, v17
	ds_read2st64_b64 v[16:19], v2 offset0:16 offset1:32
	v_fma_f32 v5, -v22, v24, 1.0
	v_fmac_f32_e32 v24, v5, v24
	v_div_scale_f32 v5, vcc, 1.0, v8, 1.0
	v_mul_f32_e32 v9, v5, v24
	v_fma_f32 v25, -v22, v9, v5
	v_fmac_f32_e32 v9, v25, v24
	v_fma_f32 v5, -v22, v9, v5
	v_div_fmas_f32 v5, v5, v24, v9
	v_div_fixup_f32 v5, v5, v8, 1.0
	s_waitcnt lgkmcnt(0)
	v_mul_f32_e64 v9, v15, -v16
	v_mul_f32_e32 v8, v15, v17
	v_fmac_f32_e32 v9, v17, v14
	v_pk_mul_f32 v[24:25], v[4:5], v[6:7] op_sel:[0,1] op_sel_hi:[0,0] neg_lo:[0,1]
	v_fmac_f32_e32 v8, v16, v14
	v_mul_f32_e32 v22, v9, v5
	v_pk_fma_f32 v[6:7], v[6:7], v[20:21], v[24:25] op_sel_hi:[1,0,1]
	v_mul_f32_e32 v8, v5, v8
	v_pk_add_f32 v[6:7], v[10:11], v[6:7] neg_lo:[0,1] neg_hi:[0,1]
	ds_read_b64 v[10:11], v3 offset:16368
	v_pk_mul_f32 v[24:25], v[22:23], v[12:13] op_sel:[0,1] op_sel_hi:[0,0] neg_lo:[0,1]
	v_pk_fma_f32 v[12:13], v[12:13], v[8:9], v[24:25] op_sel_hi:[1,0,1]
	ds_read2st64_b64 v[14:17], v23 offset0:16 offset1:32
	v_pk_add_f32 v[6:7], v[6:7], v[12:13] neg_lo:[0,1] neg_hi:[0,1]
	ds_read_b64 v[12:13], v21
	s_waitcnt lgkmcnt(2)
	v_pk_mul_f32 v[24:25], v[4:5], v[10:11] op_sel:[0,1] op_sel_hi:[0,0] neg_lo:[0,1]
	v_pk_fma_f32 v[10:11], v[10:11], v[20:21], v[24:25] op_sel_hi:[1,0,1]
	v_pk_add_f32 v[10:11], v[18:19], v[10:11] neg_lo:[0,1] neg_hi:[0,1]
	s_waitcnt lgkmcnt(1)
	v_pk_mul_f32 v[18:19], v[22:23], v[16:17] op_sel:[0,1] op_sel_hi:[0,0] neg_lo:[0,1]
	s_waitcnt lgkmcnt(0)
	v_pk_mul_f32 v[4:5], v[4:5], v[12:13] op_sel:[0,1] op_sel_hi:[0,0] neg_hi:[0,1]
	v_max_i32_e32 v3, 4, v0
	v_pk_fma_f32 v[16:17], v[16:17], v[8:9], v[18:19] op_sel_hi:[1,0,1]
	v_pk_fma_f32 v[4:5], v[12:13], v[20:21], v[4:5] op_sel_hi:[1,0,1] neg_lo:[1,0,0] neg_hi:[1,0,0]
	v_pk_mul_f32 v[12:13], v[22:23], v[14:15] op_sel:[0,1] op_sel_hi:[0,0] neg_hi:[0,1]
	v_lshlrev_b32_e32 v3, 3, v3
	v_pk_add_f32 v[10:11], v[10:11], v[16:17] neg_lo:[0,1] neg_hi:[0,1]
	v_pk_fma_f32 v[8:9], v[14:15], v[8:9], v[12:13] op_sel_hi:[1,0,1] neg_lo:[1,0,0] neg_hi:[1,0,0]
	s_barrier
	ds_write2st64_b64 v2, v[4:5], v[6:7] offset1:8
	ds_write2st64_b64 v2, v[8:9], v[10:11] offset0:16 offset1:32
	v_add_u32_e32 v4, 0x1e0, v3
	s_waitcnt lgkmcnt(0)
	s_barrier
	ds_read2st64_b64 v[4:7], v4 offset0:7 offset1:15
	v_min_u32_e32 v15, 0x1fb, v0
	ds_read2st64_b64 v[8:11], v2 offset1:8
	v_subrev_u32_e32 v21, 32, v3
	s_waitcnt lgkmcnt(1)
	v_mul_f32_e32 v12, v5, v5
	v_fmac_f32_e32 v12, v4, v4
	v_div_scale_f32 v13, s[2:3], v12, v12, 1.0
	v_rcp_f32_e32 v14, v13
	v_fma_f32 v16, -v13, v14, 1.0
	v_fmac_f32_e32 v14, v16, v14
	v_div_scale_f32 v16, vcc, 1.0, v12, 1.0
	v_mul_f32_e32 v17, v16, v14
	v_fma_f32 v18, -v13, v17, v16
	v_fmac_f32_e32 v17, v18, v14
	v_fma_f32 v13, -v13, v17, v16
	v_div_fmas_f32 v13, v13, v14, v17
	v_div_fixup_f32 v16, v13, v12, 1.0
	v_lshlrev_b32_e32 v12, 3, v15
	v_add_u32_e32 v23, 32, v12
	ds_read2st64_b64 v[12:15], v23 offset1:8
	s_waitcnt lgkmcnt(1)
	v_mul_f32_e32 v17, v5, v9
	v_fmac_f32_e32 v17, v8, v4
	v_mul_f32_e64 v5, v5, -v8
	v_fmac_f32_e32 v5, v9, v4
	s_waitcnt lgkmcnt(0)
	v_mul_f32_e32 v8, v15, v15
	v_fmac_f32_e32 v8, v14, v14
	v_div_scale_f32 v22, s[2:3], v8, v8, 1.0
	v_rcp_f32_e32 v24, v22
	v_mul_f32_e32 v4, v5, v16
	v_mul_f32_e32 v20, v16, v17
	ds_read2st64_b64 v[16:19], v2 offset0:16 offset1:32
	v_fma_f32 v5, -v22, v24, 1.0
	v_fmac_f32_e32 v24, v5, v24
	v_div_scale_f32 v5, vcc, 1.0, v8, 1.0
	v_mul_f32_e32 v9, v5, v24
	v_fma_f32 v25, -v22, v9, v5
	v_fmac_f32_e32 v9, v25, v24
	v_fma_f32 v5, -v22, v9, v5
	v_div_fmas_f32 v5, v5, v24, v9
	v_div_fixup_f32 v5, v5, v8, 1.0
	s_waitcnt lgkmcnt(0)
	v_mul_f32_e64 v9, v15, -v16
	v_mul_f32_e32 v8, v15, v17
	v_fmac_f32_e32 v9, v17, v14
	v_pk_mul_f32 v[24:25], v[4:5], v[6:7] op_sel:[0,1] op_sel_hi:[0,0] neg_lo:[0,1]
	v_fmac_f32_e32 v8, v16, v14
	v_mul_f32_e32 v22, v9, v5
	v_pk_fma_f32 v[6:7], v[6:7], v[20:21], v[24:25] op_sel_hi:[1,0,1]
	v_mul_f32_e32 v8, v5, v8
	v_pk_add_f32 v[6:7], v[10:11], v[6:7] neg_lo:[0,1] neg_hi:[0,1]
	ds_read_b64 v[10:11], v3 offset:16352
	v_pk_mul_f32 v[24:25], v[22:23], v[12:13] op_sel:[0,1] op_sel_hi:[0,0] neg_lo:[0,1]
	v_pk_fma_f32 v[12:13], v[12:13], v[8:9], v[24:25] op_sel_hi:[1,0,1]
	ds_read2st64_b64 v[14:17], v23 offset0:16 offset1:32
	v_pk_add_f32 v[6:7], v[6:7], v[12:13] neg_lo:[0,1] neg_hi:[0,1]
	ds_read_b64 v[12:13], v21
	s_waitcnt lgkmcnt(2)
	v_pk_mul_f32 v[24:25], v[4:5], v[10:11] op_sel:[0,1] op_sel_hi:[0,0] neg_lo:[0,1]
	v_pk_fma_f32 v[10:11], v[10:11], v[20:21], v[24:25] op_sel_hi:[1,0,1]
	v_pk_add_f32 v[10:11], v[18:19], v[10:11] neg_lo:[0,1] neg_hi:[0,1]
	s_waitcnt lgkmcnt(1)
	v_pk_mul_f32 v[18:19], v[22:23], v[16:17] op_sel:[0,1] op_sel_hi:[0,0] neg_lo:[0,1]
	s_waitcnt lgkmcnt(0)
	v_pk_mul_f32 v[4:5], v[4:5], v[12:13] op_sel:[0,1] op_sel_hi:[0,0] neg_hi:[0,1]
	v_max_i32_e32 v3, 8, v0
	v_pk_fma_f32 v[16:17], v[16:17], v[8:9], v[18:19] op_sel_hi:[1,0,1]
	v_pk_fma_f32 v[4:5], v[12:13], v[20:21], v[4:5] op_sel_hi:[1,0,1] neg_lo:[1,0,0] neg_hi:[1,0,0]
	v_pk_mul_f32 v[12:13], v[22:23], v[14:15] op_sel:[0,1] op_sel_hi:[0,0] neg_hi:[0,1]
	v_lshlrev_b32_e32 v3, 3, v3
	v_pk_add_f32 v[10:11], v[10:11], v[16:17] neg_lo:[0,1] neg_hi:[0,1]
	v_pk_fma_f32 v[8:9], v[14:15], v[8:9], v[12:13] op_sel_hi:[1,0,1] neg_lo:[1,0,0] neg_hi:[1,0,0]
	s_barrier
	ds_write2st64_b64 v2, v[4:5], v[6:7] offset1:8
	ds_write2st64_b64 v2, v[8:9], v[10:11] offset0:16 offset1:32
	v_add_u32_e32 v4, 0x1c0, v3
	s_waitcnt lgkmcnt(0)
	s_barrier
	ds_read2st64_b64 v[4:7], v4 offset0:7 offset1:15
	v_min_u32_e32 v15, 0x1f7, v0
	ds_read2st64_b64 v[8:11], v2 offset1:8
	v_subrev_u32_e32 v21, 64, v3
	s_waitcnt lgkmcnt(1)
	v_mul_f32_e32 v12, v5, v5
	v_fmac_f32_e32 v12, v4, v4
	v_div_scale_f32 v13, s[2:3], v12, v12, 1.0
	v_rcp_f32_e32 v14, v13
	v_fma_f32 v16, -v13, v14, 1.0
	v_fmac_f32_e32 v14, v16, v14
	v_div_scale_f32 v16, vcc, 1.0, v12, 1.0
	v_mul_f32_e32 v17, v16, v14
	v_fma_f32 v18, -v13, v17, v16
	v_fmac_f32_e32 v17, v18, v14
	v_fma_f32 v13, -v13, v17, v16
	v_div_fmas_f32 v13, v13, v14, v17
	v_div_fixup_f32 v16, v13, v12, 1.0
	v_lshlrev_b32_e32 v12, 3, v15
	v_add_u32_e32 v23, 64, v12
	ds_read2st64_b64 v[12:15], v23 offset1:8
	s_waitcnt lgkmcnt(1)
	v_mul_f32_e32 v17, v5, v9
	v_fmac_f32_e32 v17, v8, v4
	v_mul_f32_e64 v5, v5, -v8
	v_fmac_f32_e32 v5, v9, v4
	s_waitcnt lgkmcnt(0)
	v_mul_f32_e32 v8, v15, v15
	v_fmac_f32_e32 v8, v14, v14
	v_div_scale_f32 v22, s[2:3], v8, v8, 1.0
	v_rcp_f32_e32 v24, v22
	v_mul_f32_e32 v4, v5, v16
	v_mul_f32_e32 v20, v16, v17
	ds_read2st64_b64 v[16:19], v2 offset0:16 offset1:32
	v_fma_f32 v5, -v22, v24, 1.0
	v_fmac_f32_e32 v24, v5, v24
	v_div_scale_f32 v5, vcc, 1.0, v8, 1.0
	v_mul_f32_e32 v9, v5, v24
	v_fma_f32 v25, -v22, v9, v5
	v_fmac_f32_e32 v9, v25, v24
	v_fma_f32 v5, -v22, v9, v5
	v_div_fmas_f32 v5, v5, v24, v9
	v_div_fixup_f32 v5, v5, v8, 1.0
	s_waitcnt lgkmcnt(0)
	v_mul_f32_e64 v9, v15, -v16
	v_mul_f32_e32 v8, v15, v17
	v_fmac_f32_e32 v9, v17, v14
	v_pk_mul_f32 v[24:25], v[4:5], v[6:7] op_sel:[0,1] op_sel_hi:[0,0] neg_lo:[0,1]
	v_fmac_f32_e32 v8, v16, v14
	v_mul_f32_e32 v22, v9, v5
	v_pk_fma_f32 v[6:7], v[6:7], v[20:21], v[24:25] op_sel_hi:[1,0,1]
	v_mul_f32_e32 v8, v5, v8
	v_pk_add_f32 v[6:7], v[10:11], v[6:7] neg_lo:[0,1] neg_hi:[0,1]
	ds_read_b64 v[10:11], v3 offset:16320
	v_pk_mul_f32 v[24:25], v[22:23], v[12:13] op_sel:[0,1] op_sel_hi:[0,0] neg_lo:[0,1]
	v_pk_fma_f32 v[12:13], v[12:13], v[8:9], v[24:25] op_sel_hi:[1,0,1]
	ds_read2st64_b64 v[14:17], v23 offset0:16 offset1:32
	v_pk_add_f32 v[6:7], v[6:7], v[12:13] neg_lo:[0,1] neg_hi:[0,1]
	ds_read_b64 v[12:13], v21
	s_waitcnt lgkmcnt(2)
	v_pk_mul_f32 v[24:25], v[4:5], v[10:11] op_sel:[0,1] op_sel_hi:[0,0] neg_lo:[0,1]
	v_pk_fma_f32 v[10:11], v[10:11], v[20:21], v[24:25] op_sel_hi:[1,0,1]
	v_pk_add_f32 v[10:11], v[18:19], v[10:11] neg_lo:[0,1] neg_hi:[0,1]
	s_waitcnt lgkmcnt(1)
	v_pk_mul_f32 v[18:19], v[22:23], v[16:17] op_sel:[0,1] op_sel_hi:[0,0] neg_lo:[0,1]
	s_waitcnt lgkmcnt(0)
	v_pk_mul_f32 v[4:5], v[4:5], v[12:13] op_sel:[0,1] op_sel_hi:[0,0] neg_hi:[0,1]
	v_max_i32_e32 v3, 16, v0
	v_pk_fma_f32 v[16:17], v[16:17], v[8:9], v[18:19] op_sel_hi:[1,0,1]
	v_pk_fma_f32 v[4:5], v[12:13], v[20:21], v[4:5] op_sel_hi:[1,0,1] neg_lo:[1,0,0] neg_hi:[1,0,0]
	v_pk_mul_f32 v[12:13], v[22:23], v[14:15] op_sel:[0,1] op_sel_hi:[0,0] neg_hi:[0,1]
	v_lshlrev_b32_e32 v3, 3, v3
	v_pk_add_f32 v[10:11], v[10:11], v[16:17] neg_lo:[0,1] neg_hi:[0,1]
	v_pk_fma_f32 v[8:9], v[14:15], v[8:9], v[12:13] op_sel_hi:[1,0,1] neg_lo:[1,0,0] neg_hi:[1,0,0]
	s_barrier
	ds_write2st64_b64 v2, v[4:5], v[6:7] offset1:8
	ds_write2st64_b64 v2, v[8:9], v[10:11] offset0:16 offset1:32
	v_add_u32_e32 v4, 0x180, v3
	s_waitcnt lgkmcnt(0)
	s_barrier
	ds_read2st64_b64 v[4:7], v4 offset0:7 offset1:15
	v_min_u32_e32 v15, 0x1ef, v0
	ds_read2st64_b64 v[8:11], v2 offset1:8
	v_add_u32_e32 v21, 0xffffff80, v3
	s_waitcnt lgkmcnt(1)
	v_mul_f32_e32 v12, v5, v5
	v_fmac_f32_e32 v12, v4, v4
	v_div_scale_f32 v13, s[2:3], v12, v12, 1.0
	v_rcp_f32_e32 v14, v13
	v_fma_f32 v16, -v13, v14, 1.0
	v_fmac_f32_e32 v14, v16, v14
	v_div_scale_f32 v16, vcc, 1.0, v12, 1.0
	v_mul_f32_e32 v17, v16, v14
	v_fma_f32 v18, -v13, v17, v16
	v_fmac_f32_e32 v17, v18, v14
	v_fma_f32 v13, -v13, v17, v16
	v_div_fmas_f32 v13, v13, v14, v17
	v_div_fixup_f32 v16, v13, v12, 1.0
	v_lshlrev_b32_e32 v12, 3, v15
	v_add_u32_e32 v23, 0x80, v12
	ds_read2st64_b64 v[12:15], v23 offset1:8
	s_waitcnt lgkmcnt(1)
	v_mul_f32_e32 v17, v5, v9
	v_fmac_f32_e32 v17, v8, v4
	v_mul_f32_e64 v5, v5, -v8
	v_fmac_f32_e32 v5, v9, v4
	s_waitcnt lgkmcnt(0)
	v_mul_f32_e32 v8, v15, v15
	v_fmac_f32_e32 v8, v14, v14
	v_div_scale_f32 v22, s[2:3], v8, v8, 1.0
	v_rcp_f32_e32 v24, v22
	v_mul_f32_e32 v4, v5, v16
	v_mul_f32_e32 v20, v16, v17
	ds_read2st64_b64 v[16:19], v2 offset0:16 offset1:32
	v_fma_f32 v5, -v22, v24, 1.0
	v_fmac_f32_e32 v24, v5, v24
	v_div_scale_f32 v5, vcc, 1.0, v8, 1.0
	v_mul_f32_e32 v9, v5, v24
	v_fma_f32 v25, -v22, v9, v5
	v_fmac_f32_e32 v9, v25, v24
	v_fma_f32 v5, -v22, v9, v5
	v_div_fmas_f32 v5, v5, v24, v9
	v_div_fixup_f32 v5, v5, v8, 1.0
	s_waitcnt lgkmcnt(0)
	v_mul_f32_e64 v9, v15, -v16
	v_mul_f32_e32 v8, v15, v17
	v_fmac_f32_e32 v9, v17, v14
	v_pk_mul_f32 v[24:25], v[4:5], v[6:7] op_sel:[0,1] op_sel_hi:[0,0] neg_lo:[0,1]
	v_fmac_f32_e32 v8, v16, v14
	v_mul_f32_e32 v22, v9, v5
	v_pk_fma_f32 v[6:7], v[6:7], v[20:21], v[24:25] op_sel_hi:[1,0,1]
	v_mul_f32_e32 v8, v5, v8
	v_pk_add_f32 v[6:7], v[10:11], v[6:7] neg_lo:[0,1] neg_hi:[0,1]
	ds_read_b64 v[10:11], v3 offset:16256
	v_pk_mul_f32 v[24:25], v[22:23], v[12:13] op_sel:[0,1] op_sel_hi:[0,0] neg_lo:[0,1]
	v_pk_fma_f32 v[12:13], v[12:13], v[8:9], v[24:25] op_sel_hi:[1,0,1]
	ds_read2st64_b64 v[14:17], v23 offset0:16 offset1:32
	v_pk_add_f32 v[6:7], v[6:7], v[12:13] neg_lo:[0,1] neg_hi:[0,1]
	ds_read_b64 v[12:13], v21
	s_waitcnt lgkmcnt(2)
	v_pk_mul_f32 v[24:25], v[4:5], v[10:11] op_sel:[0,1] op_sel_hi:[0,0] neg_lo:[0,1]
	v_pk_fma_f32 v[10:11], v[10:11], v[20:21], v[24:25] op_sel_hi:[1,0,1]
	v_pk_add_f32 v[10:11], v[18:19], v[10:11] neg_lo:[0,1] neg_hi:[0,1]
	s_waitcnt lgkmcnt(1)
	v_pk_mul_f32 v[18:19], v[22:23], v[16:17] op_sel:[0,1] op_sel_hi:[0,0] neg_lo:[0,1]
	s_waitcnt lgkmcnt(0)
	v_pk_mul_f32 v[4:5], v[4:5], v[12:13] op_sel:[0,1] op_sel_hi:[0,0] neg_hi:[0,1]
	v_max_i32_e32 v3, 32, v0
	v_pk_fma_f32 v[16:17], v[16:17], v[8:9], v[18:19] op_sel_hi:[1,0,1]
	v_pk_fma_f32 v[4:5], v[12:13], v[20:21], v[4:5] op_sel_hi:[1,0,1] neg_lo:[1,0,0] neg_hi:[1,0,0]
	v_pk_mul_f32 v[12:13], v[22:23], v[14:15] op_sel:[0,1] op_sel_hi:[0,0] neg_hi:[0,1]
	v_lshlrev_b32_e32 v3, 3, v3
	v_pk_add_f32 v[10:11], v[10:11], v[16:17] neg_lo:[0,1] neg_hi:[0,1]
	v_pk_fma_f32 v[8:9], v[14:15], v[8:9], v[12:13] op_sel_hi:[1,0,1] neg_lo:[1,0,0] neg_hi:[1,0,0]
	s_barrier
	ds_write2st64_b64 v2, v[4:5], v[6:7] offset1:8
	ds_write2st64_b64 v2, v[8:9], v[10:11] offset0:16 offset1:32
	v_add_u32_e32 v4, 0x100, v3
	s_waitcnt lgkmcnt(0)
	s_barrier
	ds_read2st64_b64 v[4:7], v4 offset0:7 offset1:15
	v_min_u32_e32 v15, 0x1df, v0
	ds_read2st64_b64 v[8:11], v2 offset1:8
	v_add_u32_e32 v21, 0xffffff00, v3
	s_waitcnt lgkmcnt(1)
	v_mul_f32_e32 v12, v5, v5
	v_fmac_f32_e32 v12, v4, v4
	v_div_scale_f32 v13, s[2:3], v12, v12, 1.0
	v_rcp_f32_e32 v14, v13
	v_fma_f32 v16, -v13, v14, 1.0
	v_fmac_f32_e32 v14, v16, v14
	v_div_scale_f32 v16, vcc, 1.0, v12, 1.0
	v_mul_f32_e32 v17, v16, v14
	v_fma_f32 v18, -v13, v17, v16
	v_fmac_f32_e32 v17, v18, v14
	v_fma_f32 v13, -v13, v17, v16
	v_div_fmas_f32 v13, v13, v14, v17
	v_div_fixup_f32 v16, v13, v12, 1.0
	v_lshlrev_b32_e32 v12, 3, v15
	v_add_u32_e32 v23, 0x100, v12
	ds_read2st64_b64 v[12:15], v23 offset1:8
	s_waitcnt lgkmcnt(1)
	v_mul_f32_e32 v17, v5, v9
	v_fmac_f32_e32 v17, v8, v4
	v_mul_f32_e64 v5, v5, -v8
	v_fmac_f32_e32 v5, v9, v4
	s_waitcnt lgkmcnt(0)
	v_mul_f32_e32 v8, v15, v15
	v_fmac_f32_e32 v8, v14, v14
	v_div_scale_f32 v22, s[2:3], v8, v8, 1.0
	v_rcp_f32_e32 v24, v22
	v_mul_f32_e32 v4, v5, v16
	v_mul_f32_e32 v20, v16, v17
	ds_read2st64_b64 v[16:19], v2 offset0:16 offset1:32
	v_fma_f32 v5, -v22, v24, 1.0
	v_fmac_f32_e32 v24, v5, v24
	v_div_scale_f32 v5, vcc, 1.0, v8, 1.0
	v_mul_f32_e32 v9, v5, v24
	v_fma_f32 v25, -v22, v9, v5
	v_fmac_f32_e32 v9, v25, v24
	v_fma_f32 v5, -v22, v9, v5
	v_div_fmas_f32 v5, v5, v24, v9
	v_div_fixup_f32 v5, v5, v8, 1.0
	s_waitcnt lgkmcnt(0)
	v_mul_f32_e64 v9, v15, -v16
	v_mul_f32_e32 v8, v15, v17
	v_fmac_f32_e32 v9, v17, v14
	v_pk_mul_f32 v[24:25], v[4:5], v[6:7] op_sel:[0,1] op_sel_hi:[0,0] neg_lo:[0,1]
	v_fmac_f32_e32 v8, v16, v14
	v_mul_f32_e32 v22, v9, v5
	v_pk_fma_f32 v[6:7], v[6:7], v[20:21], v[24:25] op_sel_hi:[1,0,1]
	v_mul_f32_e32 v8, v5, v8
	v_pk_add_f32 v[6:7], v[10:11], v[6:7] neg_lo:[0,1] neg_hi:[0,1]
	ds_read_b64 v[10:11], v3 offset:16128
	v_pk_mul_f32 v[24:25], v[22:23], v[12:13] op_sel:[0,1] op_sel_hi:[0,0] neg_lo:[0,1]
	v_pk_fma_f32 v[12:13], v[12:13], v[8:9], v[24:25] op_sel_hi:[1,0,1]
	ds_read2st64_b64 v[14:17], v23 offset0:16 offset1:32
	v_pk_add_f32 v[6:7], v[6:7], v[12:13] neg_lo:[0,1] neg_hi:[0,1]
	ds_read_b64 v[12:13], v21
	s_waitcnt lgkmcnt(2)
	v_pk_mul_f32 v[24:25], v[4:5], v[10:11] op_sel:[0,1] op_sel_hi:[0,0] neg_lo:[0,1]
	v_pk_fma_f32 v[10:11], v[10:11], v[20:21], v[24:25] op_sel_hi:[1,0,1]
	v_pk_add_f32 v[10:11], v[18:19], v[10:11] neg_lo:[0,1] neg_hi:[0,1]
	s_waitcnt lgkmcnt(1)
	v_pk_mul_f32 v[18:19], v[22:23], v[16:17] op_sel:[0,1] op_sel_hi:[0,0] neg_lo:[0,1]
	s_waitcnt lgkmcnt(0)
	v_pk_mul_f32 v[4:5], v[4:5], v[12:13] op_sel:[0,1] op_sel_hi:[0,0] neg_hi:[0,1]
	v_max_i32_e32 v3, 64, v0
	v_pk_fma_f32 v[16:17], v[16:17], v[8:9], v[18:19] op_sel_hi:[1,0,1]
	v_pk_fma_f32 v[4:5], v[12:13], v[20:21], v[4:5] op_sel_hi:[1,0,1] neg_lo:[1,0,0] neg_hi:[1,0,0]
	v_pk_mul_f32 v[12:13], v[22:23], v[14:15] op_sel:[0,1] op_sel_hi:[0,0] neg_hi:[0,1]
	v_lshlrev_b32_e32 v3, 3, v3
	v_pk_add_f32 v[10:11], v[10:11], v[16:17] neg_lo:[0,1] neg_hi:[0,1]
	v_pk_fma_f32 v[8:9], v[14:15], v[8:9], v[12:13] op_sel_hi:[1,0,1] neg_lo:[1,0,0] neg_hi:[1,0,0]
	s_barrier
	ds_write2st64_b64 v2, v[4:5], v[6:7] offset1:8
	ds_write2st64_b64 v2, v[8:9], v[10:11] offset0:16 offset1:32
	s_waitcnt lgkmcnt(0)
	s_barrier
	ds_read2st64_b64 v[4:7], v3 offset0:7 offset1:15
	v_min_u32_e32 v15, 0x1bf, v0
	ds_read2st64_b64 v[8:11], v2 offset1:8
	v_lshlrev_b32_e32 v23, 3, v15
	v_add_u32_e32 v21, 0xfffffe00, v3
	s_waitcnt lgkmcnt(1)
	v_mul_f32_e32 v12, v5, v5
	v_fmac_f32_e32 v12, v4, v4
	v_div_scale_f32 v13, s[2:3], v12, v12, 1.0
	v_rcp_f32_e32 v14, v13
	v_fma_f32 v16, -v13, v14, 1.0
	v_fmac_f32_e32 v14, v16, v14
	v_div_scale_f32 v16, vcc, 1.0, v12, 1.0
	v_mul_f32_e32 v17, v16, v14
	v_fma_f32 v18, -v13, v17, v16
	v_fmac_f32_e32 v17, v18, v14
	v_fma_f32 v13, -v13, v17, v16
	v_div_fmas_f32 v13, v13, v14, v17
	v_div_fixup_f32 v16, v13, v12, 1.0
	ds_read2st64_b64 v[12:15], v23 offset0:1 offset1:9
	s_waitcnt lgkmcnt(1)
	v_mul_f32_e32 v17, v5, v9
	v_fmac_f32_e32 v17, v8, v4
	v_mul_f32_e64 v5, v5, -v8
	v_fmac_f32_e32 v5, v9, v4
	s_waitcnt lgkmcnt(0)
	v_mul_f32_e32 v8, v15, v15
	v_fmac_f32_e32 v8, v14, v14
	v_div_scale_f32 v22, s[2:3], v8, v8, 1.0
	v_rcp_f32_e32 v24, v22
	v_mul_f32_e32 v4, v5, v16
	v_mul_f32_e32 v20, v16, v17
	ds_read2st64_b64 v[16:19], v2 offset0:16 offset1:32
	v_fma_f32 v5, -v22, v24, 1.0
	v_fmac_f32_e32 v24, v5, v24
	v_div_scale_f32 v5, vcc, 1.0, v8, 1.0
	v_mul_f32_e32 v9, v5, v24
	v_fma_f32 v25, -v22, v9, v5
	v_fmac_f32_e32 v9, v25, v24
	v_fma_f32 v5, -v22, v9, v5
	v_div_fmas_f32 v5, v5, v24, v9
	v_div_fixup_f32 v5, v5, v8, 1.0
	s_waitcnt lgkmcnt(0)
	v_mul_f32_e64 v9, v15, -v16
	v_mul_f32_e32 v8, v15, v17
	v_fmac_f32_e32 v9, v17, v14
	v_pk_mul_f32 v[24:25], v[4:5], v[6:7] op_sel:[0,1] op_sel_hi:[0,0] neg_lo:[0,1]
	v_fmac_f32_e32 v8, v16, v14
	v_mul_f32_e32 v22, v9, v5
	v_pk_fma_f32 v[6:7], v[6:7], v[20:21], v[24:25] op_sel_hi:[1,0,1]
	v_mul_f32_e32 v8, v5, v8
	v_pk_add_f32 v[6:7], v[10:11], v[6:7] neg_lo:[0,1] neg_hi:[0,1]
	ds_read_b64 v[10:11], v3 offset:15872
	v_pk_mul_f32 v[24:25], v[22:23], v[12:13] op_sel:[0,1] op_sel_hi:[0,0] neg_lo:[0,1]
	v_pk_fma_f32 v[12:13], v[12:13], v[8:9], v[24:25] op_sel_hi:[1,0,1]
	ds_read2st64_b64 v[14:17], v23 offset0:17 offset1:33
	v_pk_add_f32 v[6:7], v[6:7], v[12:13] neg_lo:[0,1] neg_hi:[0,1]
	ds_read_b64 v[12:13], v21
	s_waitcnt lgkmcnt(2)
	v_pk_mul_f32 v[24:25], v[4:5], v[10:11] op_sel:[0,1] op_sel_hi:[0,0] neg_lo:[0,1]
	v_pk_fma_f32 v[10:11], v[10:11], v[20:21], v[24:25] op_sel_hi:[1,0,1]
	v_pk_add_f32 v[10:11], v[18:19], v[10:11] neg_lo:[0,1] neg_hi:[0,1]
	s_waitcnt lgkmcnt(1)
	v_pk_mul_f32 v[18:19], v[22:23], v[16:17] op_sel:[0,1] op_sel_hi:[0,0] neg_lo:[0,1]
	s_waitcnt lgkmcnt(0)
	v_pk_mul_f32 v[4:5], v[4:5], v[12:13] op_sel:[0,1] op_sel_hi:[0,0] neg_hi:[0,1]
	v_max_i32_e32 v3, 0x80, v0
	v_pk_fma_f32 v[16:17], v[16:17], v[8:9], v[18:19] op_sel_hi:[1,0,1]
	v_pk_fma_f32 v[4:5], v[12:13], v[20:21], v[4:5] op_sel_hi:[1,0,1] neg_lo:[1,0,0] neg_hi:[1,0,0]
	v_pk_mul_f32 v[12:13], v[22:23], v[14:15] op_sel:[0,1] op_sel_hi:[0,0] neg_hi:[0,1]
	v_lshlrev_b32_e32 v3, 3, v3
	v_pk_add_f32 v[10:11], v[10:11], v[16:17] neg_lo:[0,1] neg_hi:[0,1]
	v_pk_fma_f32 v[8:9], v[14:15], v[8:9], v[12:13] op_sel_hi:[1,0,1] neg_lo:[1,0,0] neg_hi:[1,0,0]
	s_barrier
	ds_write2st64_b64 v2, v[4:5], v[6:7] offset1:8
	ds_write2st64_b64 v2, v[8:9], v[10:11] offset0:16 offset1:32
	s_waitcnt lgkmcnt(0)
	s_barrier
	ds_read2st64_b64 v[4:7], v3 offset0:6 offset1:14
	v_min_u32_e32 v15, 0x17f, v0
	ds_read2st64_b64 v[8:11], v2 offset1:8
	v_lshlrev_b32_e32 v23, 3, v15
	v_add_u32_e32 v21, 0xfffffc00, v3
	s_waitcnt lgkmcnt(1)
	v_mul_f32_e32 v12, v5, v5
	v_fmac_f32_e32 v12, v4, v4
	v_div_scale_f32 v13, s[2:3], v12, v12, 1.0
	v_rcp_f32_e32 v14, v13
	v_fma_f32 v16, -v13, v14, 1.0
	v_fmac_f32_e32 v14, v16, v14
	v_div_scale_f32 v16, vcc, 1.0, v12, 1.0
	v_mul_f32_e32 v17, v16, v14
	v_fma_f32 v18, -v13, v17, v16
	v_fmac_f32_e32 v17, v18, v14
	v_fma_f32 v13, -v13, v17, v16
	v_div_fmas_f32 v13, v13, v14, v17
	v_div_fixup_f32 v16, v13, v12, 1.0
	ds_read2st64_b64 v[12:15], v23 offset0:2 offset1:10
	s_waitcnt lgkmcnt(1)
	v_mul_f32_e32 v17, v5, v9
	v_fmac_f32_e32 v17, v8, v4
	v_mul_f32_e64 v5, v5, -v8
	v_fmac_f32_e32 v5, v9, v4
	s_waitcnt lgkmcnt(0)
	v_mul_f32_e32 v8, v15, v15
	v_fmac_f32_e32 v8, v14, v14
	v_div_scale_f32 v22, s[2:3], v8, v8, 1.0
	v_rcp_f32_e32 v24, v22
	v_mul_f32_e32 v4, v5, v16
	v_mul_f32_e32 v20, v16, v17
	ds_read2st64_b64 v[16:19], v2 offset0:16 offset1:32
	v_fma_f32 v5, -v22, v24, 1.0
	v_fmac_f32_e32 v24, v5, v24
	v_div_scale_f32 v5, vcc, 1.0, v8, 1.0
	v_mul_f32_e32 v9, v5, v24
	v_fma_f32 v25, -v22, v9, v5
	v_fmac_f32_e32 v9, v25, v24
	v_fma_f32 v5, -v22, v9, v5
	v_div_fmas_f32 v5, v5, v24, v9
	v_div_fixup_f32 v5, v5, v8, 1.0
	s_waitcnt lgkmcnt(0)
	v_mul_f32_e64 v9, v15, -v16
	v_mul_f32_e32 v8, v15, v17
	v_fmac_f32_e32 v9, v17, v14
	v_pk_mul_f32 v[24:25], v[4:5], v[6:7] op_sel:[0,1] op_sel_hi:[0,0] neg_lo:[0,1]
	v_fmac_f32_e32 v8, v16, v14
	v_mul_f32_e32 v22, v9, v5
	v_pk_fma_f32 v[6:7], v[6:7], v[20:21], v[24:25] op_sel_hi:[1,0,1]
	v_mul_f32_e32 v8, v5, v8
	v_pk_add_f32 v[6:7], v[10:11], v[6:7] neg_lo:[0,1] neg_hi:[0,1]
	ds_read_b64 v[10:11], v3 offset:15360
	v_pk_mul_f32 v[24:25], v[22:23], v[12:13] op_sel:[0,1] op_sel_hi:[0,0] neg_lo:[0,1]
	v_pk_fma_f32 v[12:13], v[12:13], v[8:9], v[24:25] op_sel_hi:[1,0,1]
	ds_read2st64_b64 v[14:17], v23 offset0:18 offset1:34
	v_pk_add_f32 v[6:7], v[6:7], v[12:13] neg_lo:[0,1] neg_hi:[0,1]
	ds_read_b64 v[12:13], v21
	s_waitcnt lgkmcnt(2)
	v_pk_mul_f32 v[24:25], v[4:5], v[10:11] op_sel:[0,1] op_sel_hi:[0,0] neg_lo:[0,1]
	v_pk_fma_f32 v[10:11], v[10:11], v[20:21], v[24:25] op_sel_hi:[1,0,1]
	v_pk_add_f32 v[10:11], v[18:19], v[10:11] neg_lo:[0,1] neg_hi:[0,1]
	s_waitcnt lgkmcnt(1)
	v_pk_mul_f32 v[18:19], v[22:23], v[16:17] op_sel:[0,1] op_sel_hi:[0,0] neg_lo:[0,1]
	s_waitcnt lgkmcnt(0)
	v_pk_mul_f32 v[4:5], v[4:5], v[12:13] op_sel:[0,1] op_sel_hi:[0,0] neg_hi:[0,1]
	v_pk_fma_f32 v[16:17], v[16:17], v[8:9], v[18:19] op_sel_hi:[1,0,1]
	v_pk_fma_f32 v[4:5], v[12:13], v[20:21], v[4:5] op_sel_hi:[1,0,1] neg_lo:[1,0,0] neg_hi:[1,0,0]
	v_pk_mul_f32 v[12:13], v[22:23], v[14:15] op_sel:[0,1] op_sel_hi:[0,0] neg_hi:[0,1]
	v_cmp_gt_u32_e32 vcc, s6, v0
	v_pk_add_f32 v[10:11], v[10:11], v[16:17] neg_lo:[0,1] neg_hi:[0,1]
	v_pk_fma_f32 v[8:9], v[14:15], v[8:9], v[12:13] op_sel_hi:[1,0,1] neg_lo:[1,0,0] neg_hi:[1,0,0]
	s_barrier
	ds_write2st64_b64 v2, v[4:5], v[6:7] offset1:8
	ds_write2st64_b64 v2, v[8:9], v[10:11] offset0:16 offset1:32
	s_waitcnt lgkmcnt(0)
	s_barrier
	s_and_saveexec_b64 s[2:3], vcc
	s_cbranch_execz .LBB62_2
; %bb.1:
	v_or_b32_e32 v0, 0x1000, v2
	v_or_b32_e32 v3, 0x2000, v2
	ds_read2st64_b64 v[4:7], v0 offset1:4
	ds_read_b64 v[12:13], v3
	ds_read_b64 v[14:15], v2 offset:2048
	s_waitcnt lgkmcnt(2)
	v_pk_mul_f32 v[8:9], v[4:5], v[6:7] op_sel:[1,1] op_sel_hi:[1,0] neg_lo:[0,1]
	v_pk_fma_f32 v[8:9], v[6:7], v[4:5], v[8:9] op_sel_hi:[1,0,1]
	s_waitcnt lgkmcnt(0)
	v_pk_mul_f32 v[10:11], v[14:15], v[12:13] op_sel:[1,1] op_sel_hi:[1,0] neg_lo:[0,1]
	v_pk_fma_f32 v[10:11], v[12:13], v[14:15], v[10:11] op_sel_hi:[1,0,1]
	v_pk_add_f32 v[16:17], v[8:9], v[10:11] neg_lo:[0,1] neg_hi:[0,1]
	v_mul_f32_e32 v0, v17, v17
	v_fmac_f32_e32 v0, v16, v16
	v_div_scale_f32 v3, s[8:9], v0, v0, 1.0
	v_rcp_f32_e32 v18, v3
	v_or_b32_e32 v8, 0x4000, v2
	ds_read2st64_b64 v[8:11], v8 offset1:4
	v_fma_f32 v19, -v3, v18, 1.0
	v_fmac_f32_e32 v18, v19, v18
	v_div_scale_f32 v19, vcc, 1.0, v0, 1.0
	v_mul_f32_e32 v20, v19, v18
	v_fma_f32 v21, -v3, v20, v19
	v_fmac_f32_e32 v20, v21, v18
	v_fma_f32 v3, -v3, v20, v19
	v_div_fmas_f32 v3, v3, v18, v20
	s_waitcnt lgkmcnt(0)
	v_pk_mul_f32 v[18:19], v[8:9], v[6:7] op_sel:[1,1] op_sel_hi:[1,0] neg_lo:[0,1]
	v_pk_fma_f32 v[6:7], v[6:7], v[8:9], v[18:19] op_sel_hi:[1,0,1]
	v_pk_mul_f32 v[18:19], v[10:11], v[12:13] op_sel:[1,1] op_sel_hi:[1,0] neg_lo:[0,1]
	v_div_fixup_f32 v3, v3, v0, 1.0
	v_fma_f32 v0, 0, v17, v16
	v_fma_f32 v16, v16, 0, -v17
	v_pk_fma_f32 v[12:13], v[12:13], v[10:11], v[18:19] op_sel_hi:[1,0,1]
	v_mul_f32_e32 v16, v16, v3
	v_pk_add_f32 v[6:7], v[6:7], v[12:13] neg_lo:[0,1] neg_hi:[0,1]
	v_mul_f32_e32 v0, v0, v3
	v_pk_mul_f32 v[12:13], v[16:17], v[6:7] op_sel:[0,1] op_sel_hi:[0,0] neg_lo:[0,1]
	v_pk_fma_f32 v[6:7], v[6:7], v[0:1], v[12:13] op_sel_hi:[1,0,1]
	v_pk_mul_f32 v[12:13], v[4:5], v[10:11] op_sel:[1,1] op_sel_hi:[1,0] neg_lo:[0,1]
	v_pk_fma_f32 v[4:5], v[10:11], v[4:5], v[12:13] op_sel_hi:[1,0,1]
	;; [unrolled: 2-line block ×3, first 2 shown]
	v_pk_add_f32 v[4:5], v[4:5], v[8:9] neg_lo:[0,1] neg_hi:[0,1]
	v_pk_mul_f32 v[8:9], v[16:17], v[4:5] op_sel:[0,1] op_sel_hi:[0,0] neg_lo:[0,1]
	v_pk_fma_f32 v[4:5], v[4:5], v[0:1], v[8:9] op_sel_hi:[1,0,1]
	ds_write2st64_b64 v2, v[6:7], v[4:5] offset0:24 offset1:28
.LBB62_2:
	s_or_b64 exec, exec, s[2:3]
	s_waitcnt lgkmcnt(0)
	s_barrier
	s_and_saveexec_b64 s[2:3], s[0:1]
	s_cbranch_execz .LBB62_4
; %bb.3:
	s_load_dword s2, s[4:5], 0x8
	s_load_dwordx2 s[0:1], s[4:5], 0x30
	ds_read_b64 v[4:5], v2 offset:12288
	v_mov_b32_e32 v3, 0
	s_waitcnt lgkmcnt(0)
	s_mul_i32 s7, s7, s2
	v_add_u32_e32 v2, s7, v1
	v_lshlrev_b64 v[0:1], 3, v[2:3]
	v_mov_b32_e32 v6, s1
	v_add_co_u32_e32 v0, vcc, s0, v0
	v_addc_co_u32_e32 v1, vcc, v6, v1, vcc
	global_store_dwordx2 v[0:1], v[4:5], off
.LBB62_4:
	s_endpgm
	.section	.rodata,"a",@progbits
	.p2align	6, 0x0
	.amdhsa_kernel _ZN9rocsparseL44gtsv_nopivot_strided_batch_pcr_stage2_kernelILj512E21rocsparse_complex_numIfEEEviiiPKT0_S5_S5_S5_PS3_
		.amdhsa_group_segment_fixed_size 20480
		.amdhsa_private_segment_fixed_size 0
		.amdhsa_kernarg_size 312
		.amdhsa_user_sgpr_count 6
		.amdhsa_user_sgpr_private_segment_buffer 1
		.amdhsa_user_sgpr_dispatch_ptr 0
		.amdhsa_user_sgpr_queue_ptr 0
		.amdhsa_user_sgpr_kernarg_segment_ptr 1
		.amdhsa_user_sgpr_dispatch_id 0
		.amdhsa_user_sgpr_flat_scratch_init 0
		.amdhsa_user_sgpr_kernarg_preload_length 0
		.amdhsa_user_sgpr_kernarg_preload_offset 0
		.amdhsa_user_sgpr_private_segment_size 0
		.amdhsa_uses_dynamic_stack 0
		.amdhsa_system_sgpr_private_segment_wavefront_offset 0
		.amdhsa_system_sgpr_workgroup_id_x 1
		.amdhsa_system_sgpr_workgroup_id_y 1
		.amdhsa_system_sgpr_workgroup_id_z 0
		.amdhsa_system_sgpr_workgroup_info 0
		.amdhsa_system_vgpr_workitem_id 0
		.amdhsa_next_free_vgpr 35
		.amdhsa_next_free_sgpr 16
		.amdhsa_accum_offset 36
		.amdhsa_reserve_vcc 1
		.amdhsa_reserve_flat_scratch 0
		.amdhsa_float_round_mode_32 0
		.amdhsa_float_round_mode_16_64 0
		.amdhsa_float_denorm_mode_32 3
		.amdhsa_float_denorm_mode_16_64 3
		.amdhsa_dx10_clamp 1
		.amdhsa_ieee_mode 1
		.amdhsa_fp16_overflow 0
		.amdhsa_tg_split 0
		.amdhsa_exception_fp_ieee_invalid_op 0
		.amdhsa_exception_fp_denorm_src 0
		.amdhsa_exception_fp_ieee_div_zero 0
		.amdhsa_exception_fp_ieee_overflow 0
		.amdhsa_exception_fp_ieee_underflow 0
		.amdhsa_exception_fp_ieee_inexact 0
		.amdhsa_exception_int_div_zero 0
	.end_amdhsa_kernel
	.section	.text._ZN9rocsparseL44gtsv_nopivot_strided_batch_pcr_stage2_kernelILj512E21rocsparse_complex_numIfEEEviiiPKT0_S5_S5_S5_PS3_,"axG",@progbits,_ZN9rocsparseL44gtsv_nopivot_strided_batch_pcr_stage2_kernelILj512E21rocsparse_complex_numIfEEEviiiPKT0_S5_S5_S5_PS3_,comdat
.Lfunc_end62:
	.size	_ZN9rocsparseL44gtsv_nopivot_strided_batch_pcr_stage2_kernelILj512E21rocsparse_complex_numIfEEEviiiPKT0_S5_S5_S5_PS3_, .Lfunc_end62-_ZN9rocsparseL44gtsv_nopivot_strided_batch_pcr_stage2_kernelILj512E21rocsparse_complex_numIfEEEviiiPKT0_S5_S5_S5_PS3_
                                        ; -- End function
	.section	.AMDGPU.csdata,"",@progbits
; Kernel info:
; codeLenInByte = 4580
; NumSgprs: 20
; NumVgprs: 35
; NumAgprs: 0
; TotalNumVgprs: 35
; ScratchSize: 0
; MemoryBound: 0
; FloatMode: 240
; IeeeMode: 1
; LDSByteSize: 20480 bytes/workgroup (compile time only)
; SGPRBlocks: 2
; VGPRBlocks: 4
; NumSGPRsForWavesPerEU: 20
; NumVGPRsForWavesPerEU: 35
; AccumOffset: 36
; Occupancy: 6
; WaveLimiterHint : 0
; COMPUTE_PGM_RSRC2:SCRATCH_EN: 0
; COMPUTE_PGM_RSRC2:USER_SGPR: 6
; COMPUTE_PGM_RSRC2:TRAP_HANDLER: 0
; COMPUTE_PGM_RSRC2:TGID_X_EN: 1
; COMPUTE_PGM_RSRC2:TGID_Y_EN: 1
; COMPUTE_PGM_RSRC2:TGID_Z_EN: 0
; COMPUTE_PGM_RSRC2:TIDIG_COMP_CNT: 0
; COMPUTE_PGM_RSRC3_GFX90A:ACCUM_OFFSET: 8
; COMPUTE_PGM_RSRC3_GFX90A:TG_SPLIT: 0
	.section	.text._ZN9rocsparseL49gtsv_nopivot_strided_batch_pcr_pow2_shared_kernelILj2E21rocsparse_complex_numIdEEEviiiPKT0_S5_S5_PS3_,"axG",@progbits,_ZN9rocsparseL49gtsv_nopivot_strided_batch_pcr_pow2_shared_kernelILj2E21rocsparse_complex_numIdEEEviiiPKT0_S5_S5_PS3_,comdat
	.globl	_ZN9rocsparseL49gtsv_nopivot_strided_batch_pcr_pow2_shared_kernelILj2E21rocsparse_complex_numIdEEEviiiPKT0_S5_S5_PS3_ ; -- Begin function _ZN9rocsparseL49gtsv_nopivot_strided_batch_pcr_pow2_shared_kernelILj2E21rocsparse_complex_numIdEEEviiiPKT0_S5_S5_PS3_
	.p2align	8
	.type	_ZN9rocsparseL49gtsv_nopivot_strided_batch_pcr_pow2_shared_kernelILj2E21rocsparse_complex_numIdEEEviiiPKT0_S5_S5_PS3_,@function
_ZN9rocsparseL49gtsv_nopivot_strided_batch_pcr_pow2_shared_kernelILj2E21rocsparse_complex_numIdEEEviiiPKT0_S5_S5_PS3_: ; @_ZN9rocsparseL49gtsv_nopivot_strided_batch_pcr_pow2_shared_kernelILj2E21rocsparse_complex_numIdEEEviiiPKT0_S5_S5_PS3_
; %bb.0:
	s_load_dword s0, s[4:5], 0x8
	s_load_dwordx8 s[8:15], s[4:5], 0x10
	s_waitcnt lgkmcnt(0)
	s_mul_i32 s6, s6, s0
	v_add_u32_e32 v2, s6, v0
	v_ashrrev_i32_e32 v3, 31, v2
	v_lshlrev_b64 v[2:3], 4, v[2:3]
	v_mov_b32_e32 v1, s9
	v_add_co_u32_e32 v4, vcc, s8, v2
	v_addc_co_u32_e32 v5, vcc, v1, v3, vcc
	v_mov_b32_e32 v1, s11
	v_add_co_u32_e32 v8, vcc, s10, v2
	v_addc_co_u32_e32 v9, vcc, v1, v3, vcc
	v_mov_b32_e32 v1, s13
	v_add_co_u32_e32 v12, vcc, s12, v2
	global_load_dwordx4 v[4:7], v[4:5], off
	v_addc_co_u32_e32 v13, vcc, v1, v3, vcc
	global_load_dwordx4 v[8:11], v[8:9], off
	v_mov_b32_e32 v1, s15
	v_add_co_u32_e32 v2, vcc, s14, v2
	global_load_dwordx4 v[12:15], v[12:13], off
	v_addc_co_u32_e32 v3, vcc, v1, v3, vcc
	global_load_dwordx4 v[16:19], v[2:3], off
	v_lshlrev_b32_e32 v1, 4, v0
	v_cmp_eq_u32_e32 vcc, 0, v0
	s_waitcnt vmcnt(3)
	ds_write2_b64 v1, v[4:5], v[6:7] offset1:1
	s_waitcnt vmcnt(2)
	ds_write2_b64 v1, v[8:9], v[10:11] offset0:6 offset1:7
	s_waitcnt vmcnt(1)
	ds_write2_b64 v1, v[12:13], v[14:15] offset0:12 offset1:13
	;; [unrolled: 2-line block ×3, first 2 shown]
	s_waitcnt lgkmcnt(0)
	; wave barrier
	s_waitcnt lgkmcnt(0)
	s_and_saveexec_b64 s[0:1], vcc
	s_cbranch_execz .LBB63_2
; %bb.1:
	v_add_u32_e32 v0, 48, v1
	v_mov_b32_e32 v42, 0
	ds_read_b128 v[4:7], v42 offset:64
	ds_read_b128 v[8:11], v0
	v_or_b32_e32 v0, 0x60, v1
	ds_read_b128 v[12:15], v0
	ds_read_b128 v[16:19], v42 offset:208
	ds_read_b128 v[20:23], v42 offset:16
	v_or_b32_e32 v24, 0xc0, v1
	ds_read_b128 v[24:27], v24
	s_waitcnt lgkmcnt(4)
	v_mul_f64 v[30:31], v[10:11], v[4:5]
	v_mul_f64 v[28:29], v[10:11], -v[6:7]
	s_waitcnt lgkmcnt(1)
	v_mul_f64 v[34:35], v[22:23], v[12:13]
	v_fmac_f64_e32 v[30:31], v[6:7], v[8:9]
	v_mul_f64 v[32:33], v[22:23], -v[14:15]
	v_fmac_f64_e32 v[34:35], v[14:15], v[20:21]
	v_fmac_f64_e32 v[28:29], v[4:5], v[8:9]
	;; [unrolled: 1-line block ×3, first 2 shown]
	v_add_f64 v[30:31], v[30:31], -v[34:35]
	v_add_f64 v[28:29], v[28:29], -v[32:33]
	v_mul_f64 v[32:33], v[30:31], v[30:31]
	v_fmac_f64_e32 v[32:33], v[28:29], v[28:29]
	v_div_scale_f64 v[34:35], s[2:3], v[32:33], v[32:33], 1.0
	v_rcp_f64_e32 v[36:37], v[34:35]
	v_fma_f64 v[38:39], -v[34:35], v[36:37], 1.0
	v_fmac_f64_e32 v[36:37], v[36:37], v[38:39]
	v_fma_f64 v[38:39], -v[34:35], v[36:37], 1.0
	v_fmac_f64_e32 v[36:37], v[36:37], v[38:39]
	v_div_scale_f64 v[38:39], vcc, 1.0, v[32:33], 1.0
	v_mul_f64 v[40:41], v[38:39], v[36:37]
	v_fma_f64 v[34:35], -v[34:35], v[40:41], v[38:39]
	s_nop 1
	v_div_fmas_f64 v[34:35], v[34:35], v[36:37], v[40:41]
	v_div_fixup_f64 v[32:33], v[34:35], v[32:33], 1.0
	v_fma_f64 v[34:35], 0, v[30:31], v[28:29]
	v_fma_f64 v[28:29], v[28:29], 0, -v[30:31]
	s_waitcnt lgkmcnt(0)
	v_mul_f64 v[30:31], v[26:27], -v[6:7]
	v_fmac_f64_e32 v[30:31], v[4:5], v[24:25]
	v_mul_f64 v[4:5], v[4:5], v[26:27]
	v_fmac_f64_e32 v[4:5], v[6:7], v[24:25]
	v_mul_f64 v[6:7], v[18:19], -v[14:15]
	v_fmac_f64_e32 v[6:7], v[12:13], v[16:17]
	v_mul_f64 v[12:13], v[12:13], v[18:19]
	v_fmac_f64_e32 v[12:13], v[14:15], v[16:17]
	v_mul_f64 v[28:29], v[28:29], v[32:33]
	v_add_f64 v[12:13], v[4:5], -v[12:13]
	v_mul_f64 v[34:35], v[34:35], v[32:33]
	v_add_f64 v[6:7], v[30:31], -v[6:7]
	v_mul_f64 v[4:5], v[28:29], -v[12:13]
	v_fmac_f64_e32 v[4:5], v[6:7], v[34:35]
	v_mul_f64 v[6:7], v[28:29], v[6:7]
	v_fmac_f64_e32 v[6:7], v[12:13], v[34:35]
	ds_write_b128 v42, v[4:7] offset:144
	v_mul_f64 v[4:5], v[10:11], -v[18:19]
	v_mul_f64 v[6:7], v[10:11], v[16:17]
	v_fmac_f64_e32 v[4:5], v[16:17], v[8:9]
	v_fmac_f64_e32 v[6:7], v[18:19], v[8:9]
	v_mul_f64 v[8:9], v[22:23], -v[26:27]
	v_mul_f64 v[10:11], v[22:23], v[24:25]
	v_fmac_f64_e32 v[8:9], v[24:25], v[20:21]
	v_fmac_f64_e32 v[10:11], v[26:27], v[20:21]
	v_add_f64 v[8:9], v[4:5], -v[8:9]
	v_add_f64 v[10:11], v[6:7], -v[10:11]
	v_mul_f64 v[4:5], v[28:29], -v[10:11]
	v_mul_f64 v[6:7], v[28:29], v[8:9]
	v_fmac_f64_e32 v[4:5], v[8:9], v[34:35]
	v_fmac_f64_e32 v[6:7], v[10:11], v[34:35]
	ds_write_b128 v42, v[4:7] offset:160
.LBB63_2:
	s_or_b64 exec, exec, s[0:1]
	s_waitcnt lgkmcnt(0)
	; wave barrier
	s_waitcnt lgkmcnt(0)
	ds_read2_b64 v[4:7], v1 offset0:18 offset1:19
	s_waitcnt lgkmcnt(0)
	global_store_dwordx4 v[2:3], v[4:7], off
	s_endpgm
	.section	.rodata,"a",@progbits
	.p2align	6, 0x0
	.amdhsa_kernel _ZN9rocsparseL49gtsv_nopivot_strided_batch_pcr_pow2_shared_kernelILj2E21rocsparse_complex_numIdEEEviiiPKT0_S5_S5_PS3_
		.amdhsa_group_segment_fixed_size 240
		.amdhsa_private_segment_fixed_size 0
		.amdhsa_kernarg_size 48
		.amdhsa_user_sgpr_count 6
		.amdhsa_user_sgpr_private_segment_buffer 1
		.amdhsa_user_sgpr_dispatch_ptr 0
		.amdhsa_user_sgpr_queue_ptr 0
		.amdhsa_user_sgpr_kernarg_segment_ptr 1
		.amdhsa_user_sgpr_dispatch_id 0
		.amdhsa_user_sgpr_flat_scratch_init 0
		.amdhsa_user_sgpr_kernarg_preload_length 0
		.amdhsa_user_sgpr_kernarg_preload_offset 0
		.amdhsa_user_sgpr_private_segment_size 0
		.amdhsa_uses_dynamic_stack 0
		.amdhsa_system_sgpr_private_segment_wavefront_offset 0
		.amdhsa_system_sgpr_workgroup_id_x 1
		.amdhsa_system_sgpr_workgroup_id_y 0
		.amdhsa_system_sgpr_workgroup_id_z 0
		.amdhsa_system_sgpr_workgroup_info 0
		.amdhsa_system_vgpr_workitem_id 0
		.amdhsa_next_free_vgpr 43
		.amdhsa_next_free_sgpr 16
		.amdhsa_accum_offset 44
		.amdhsa_reserve_vcc 1
		.amdhsa_reserve_flat_scratch 0
		.amdhsa_float_round_mode_32 0
		.amdhsa_float_round_mode_16_64 0
		.amdhsa_float_denorm_mode_32 3
		.amdhsa_float_denorm_mode_16_64 3
		.amdhsa_dx10_clamp 1
		.amdhsa_ieee_mode 1
		.amdhsa_fp16_overflow 0
		.amdhsa_tg_split 0
		.amdhsa_exception_fp_ieee_invalid_op 0
		.amdhsa_exception_fp_denorm_src 0
		.amdhsa_exception_fp_ieee_div_zero 0
		.amdhsa_exception_fp_ieee_overflow 0
		.amdhsa_exception_fp_ieee_underflow 0
		.amdhsa_exception_fp_ieee_inexact 0
		.amdhsa_exception_int_div_zero 0
	.end_amdhsa_kernel
	.section	.text._ZN9rocsparseL49gtsv_nopivot_strided_batch_pcr_pow2_shared_kernelILj2E21rocsparse_complex_numIdEEEviiiPKT0_S5_S5_PS3_,"axG",@progbits,_ZN9rocsparseL49gtsv_nopivot_strided_batch_pcr_pow2_shared_kernelILj2E21rocsparse_complex_numIdEEEviiiPKT0_S5_S5_PS3_,comdat
.Lfunc_end63:
	.size	_ZN9rocsparseL49gtsv_nopivot_strided_batch_pcr_pow2_shared_kernelILj2E21rocsparse_complex_numIdEEEviiiPKT0_S5_S5_PS3_, .Lfunc_end63-_ZN9rocsparseL49gtsv_nopivot_strided_batch_pcr_pow2_shared_kernelILj2E21rocsparse_complex_numIdEEEviiiPKT0_S5_S5_PS3_
                                        ; -- End function
	.section	.AMDGPU.csdata,"",@progbits
; Kernel info:
; codeLenInByte = 692
; NumSgprs: 20
; NumVgprs: 43
; NumAgprs: 0
; TotalNumVgprs: 43
; ScratchSize: 0
; MemoryBound: 0
; FloatMode: 240
; IeeeMode: 1
; LDSByteSize: 240 bytes/workgroup (compile time only)
; SGPRBlocks: 2
; VGPRBlocks: 5
; NumSGPRsForWavesPerEU: 20
; NumVGPRsForWavesPerEU: 43
; AccumOffset: 44
; Occupancy: 8
; WaveLimiterHint : 0
; COMPUTE_PGM_RSRC2:SCRATCH_EN: 0
; COMPUTE_PGM_RSRC2:USER_SGPR: 6
; COMPUTE_PGM_RSRC2:TRAP_HANDLER: 0
; COMPUTE_PGM_RSRC2:TGID_X_EN: 1
; COMPUTE_PGM_RSRC2:TGID_Y_EN: 0
; COMPUTE_PGM_RSRC2:TGID_Z_EN: 0
; COMPUTE_PGM_RSRC2:TIDIG_COMP_CNT: 0
; COMPUTE_PGM_RSRC3_GFX90A:ACCUM_OFFSET: 10
; COMPUTE_PGM_RSRC3_GFX90A:TG_SPLIT: 0
	.section	.text._ZN9rocsparseL49gtsv_nopivot_strided_batch_pcr_pow2_shared_kernelILj4E21rocsparse_complex_numIdEEEviiiPKT0_S5_S5_PS3_,"axG",@progbits,_ZN9rocsparseL49gtsv_nopivot_strided_batch_pcr_pow2_shared_kernelILj4E21rocsparse_complex_numIdEEEviiiPKT0_S5_S5_PS3_,comdat
	.globl	_ZN9rocsparseL49gtsv_nopivot_strided_batch_pcr_pow2_shared_kernelILj4E21rocsparse_complex_numIdEEEviiiPKT0_S5_S5_PS3_ ; -- Begin function _ZN9rocsparseL49gtsv_nopivot_strided_batch_pcr_pow2_shared_kernelILj4E21rocsparse_complex_numIdEEEviiiPKT0_S5_S5_PS3_
	.p2align	8
	.type	_ZN9rocsparseL49gtsv_nopivot_strided_batch_pcr_pow2_shared_kernelILj4E21rocsparse_complex_numIdEEEviiiPKT0_S5_S5_PS3_,@function
_ZN9rocsparseL49gtsv_nopivot_strided_batch_pcr_pow2_shared_kernelILj4E21rocsparse_complex_numIdEEEviiiPKT0_S5_S5_PS3_: ; @_ZN9rocsparseL49gtsv_nopivot_strided_batch_pcr_pow2_shared_kernelILj4E21rocsparse_complex_numIdEEEviiiPKT0_S5_S5_PS3_
; %bb.0:
	s_load_dword s0, s[4:5], 0x8
	s_load_dwordx8 s[8:15], s[4:5], 0x10
	v_max_u32_e32 v21, 1, v0
	v_lshlrev_b32_e32 v36, 4, v21
	v_min_u32_e32 v20, 2, v0
	s_waitcnt lgkmcnt(0)
	s_mul_i32 s6, s6, s0
	v_add_u32_e32 v2, s6, v0
	v_ashrrev_i32_e32 v3, 31, v2
	v_lshlrev_b64 v[2:3], 4, v[2:3]
	v_mov_b32_e32 v1, s9
	v_add_co_u32_e32 v4, vcc, s8, v2
	v_addc_co_u32_e32 v5, vcc, v1, v3, vcc
	v_mov_b32_e32 v1, s11
	v_add_co_u32_e32 v8, vcc, s10, v2
	v_addc_co_u32_e32 v9, vcc, v1, v3, vcc
	v_mov_b32_e32 v1, s13
	v_add_co_u32_e32 v12, vcc, s12, v2
	global_load_dwordx4 v[4:7], v[4:5], off
	v_addc_co_u32_e32 v13, vcc, v1, v3, vcc
	global_load_dwordx4 v[8:11], v[8:9], off
	v_mov_b32_e32 v1, s15
	v_add_co_u32_e32 v2, vcc, s14, v2
	global_load_dwordx4 v[12:15], v[12:13], off
	v_addc_co_u32_e32 v3, vcc, v1, v3, vcc
	global_load_dwordx4 v[16:19], v[2:3], off
	v_lshlrev_b32_e32 v1, 4, v0
	v_add_u32_e32 v40, -16, v36
	v_lshlrev_b32_e32 v56, 4, v20
	s_waitcnt vmcnt(3)
	ds_write2_b64 v1, v[4:5], v[6:7] offset1:1
	s_waitcnt vmcnt(2)
	ds_write2_b64 v1, v[8:9], v[10:11] offset0:10 offset1:11
	s_waitcnt vmcnt(1)
	ds_write2_b64 v1, v[12:13], v[14:15] offset0:20 offset1:21
	;; [unrolled: 2-line block ×3, first 2 shown]
	s_waitcnt lgkmcnt(0)
	; wave barrier
	s_waitcnt lgkmcnt(0)
	ds_read_b128 v[4:7], v36 offset:64
	ds_read_b128 v[8:11], v36 offset:144
	ds_read_b128 v[12:15], v1
	ds_read_b128 v[16:19], v1 offset:80
	ds_read_b128 v[20:23], v56 offset:96
	;; [unrolled: 1-line block ×6, first 2 shown]
	ds_read_b128 v[40:43], v40
	s_waitcnt lgkmcnt(9)
	v_mul_f64 v[44:45], v[6:7], v[6:7]
	s_waitcnt lgkmcnt(7)
	v_mul_f64 v[46:47], v[6:7], v[14:15]
	v_mul_f64 v[6:7], v[6:7], -v[12:13]
	s_waitcnt lgkmcnt(5)
	v_mul_f64 v[48:49], v[22:23], v[22:23]
	v_fmac_f64_e32 v[44:45], v[4:5], v[4:5]
	s_waitcnt lgkmcnt(3)
	v_mul_f64 v[50:51], v[22:23], v[30:31]
	v_mul_f64 v[22:23], v[22:23], -v[28:29]
	v_fmac_f64_e32 v[46:47], v[12:13], v[4:5]
	v_fmac_f64_e32 v[6:7], v[14:15], v[4:5]
	;; [unrolled: 1-line block ×3, first 2 shown]
	v_div_scale_f64 v[4:5], s[0:1], v[44:45], v[44:45], 1.0
	v_fmac_f64_e32 v[50:51], v[28:29], v[20:21]
	v_fmac_f64_e32 v[22:23], v[30:31], v[20:21]
	v_div_scale_f64 v[14:15], s[0:1], v[48:49], v[48:49], 1.0
	v_rcp_f64_e32 v[20:21], v[4:5]
	v_rcp_f64_e32 v[28:29], v[14:15]
	v_div_scale_f64 v[12:13], vcc, 1.0, v[44:45], 1.0
	v_fma_f64 v[52:53], -v[4:5], v[20:21], 1.0
	v_fma_f64 v[54:55], -v[14:15], v[28:29], 1.0
	v_fmac_f64_e32 v[20:21], v[20:21], v[52:53]
	v_fmac_f64_e32 v[28:29], v[28:29], v[54:55]
	v_fma_f64 v[52:53], -v[4:5], v[20:21], 1.0
	v_fma_f64 v[54:55], -v[14:15], v[28:29], 1.0
	v_fmac_f64_e32 v[20:21], v[20:21], v[52:53]
	v_div_scale_f64 v[30:31], s[0:1], 1.0, v[48:49], 1.0
	v_fmac_f64_e32 v[28:29], v[28:29], v[54:55]
	v_mul_f64 v[52:53], v[12:13], v[20:21]
	v_mul_f64 v[54:55], v[30:31], v[28:29]
	v_fma_f64 v[4:5], -v[4:5], v[52:53], v[12:13]
	v_fma_f64 v[12:13], -v[14:15], v[54:55], v[30:31]
	v_div_fmas_f64 v[4:5], v[4:5], v[20:21], v[52:53]
	s_mov_b64 vcc, s[0:1]
	v_div_fixup_f64 v[4:5], v[4:5], v[44:45], 1.0
	v_div_fmas_f64 v[12:13], v[12:13], v[28:29], v[54:55]
	v_mul_f64 v[20:21], v[4:5], v[46:47]
	v_mul_f64 v[28:29], v[4:5], v[6:7]
	v_div_fixup_f64 v[4:5], v[12:13], v[48:49], 1.0
	v_mul_f64 v[30:31], v[4:5], v[50:51]
	v_mul_f64 v[22:23], v[4:5], v[22:23]
	v_mul_f64 v[4:5], v[28:29], -v[10:11]
	v_mul_f64 v[6:7], v[28:29], v[8:9]
	v_fmac_f64_e32 v[4:5], v[8:9], v[20:21]
	v_mul_f64 v[8:9], v[22:23], -v[26:27]
	v_add_f64 v[4:5], v[16:17], -v[4:5]
	v_fmac_f64_e32 v[8:9], v[24:25], v[30:31]
	v_fmac_f64_e32 v[6:7], v[10:11], v[20:21]
	v_add_f64 v[4:5], v[4:5], -v[8:9]
	ds_read_b128 v[8:11], v56 offset:336
	s_waitcnt lgkmcnt(2)
	v_mul_f64 v[12:13], v[28:29], -v[38:39]
	v_mul_f64 v[14:15], v[28:29], v[36:37]
	v_fmac_f64_e32 v[12:13], v[36:37], v[20:21]
	v_fmac_f64_e32 v[14:15], v[38:39], v[20:21]
	v_add_f64 v[6:7], v[18:19], -v[6:7]
	v_add_f64 v[16:17], v[32:33], -v[12:13]
	;; [unrolled: 1-line block ×3, first 2 shown]
	ds_read_b128 v[12:15], v56 offset:176
	v_mul_f64 v[44:45], v[22:23], v[24:25]
	v_fmac_f64_e32 v[44:45], v[26:27], v[30:31]
	s_waitcnt lgkmcnt(1)
	v_mul_f64 v[24:25], v[22:23], -v[10:11]
	v_mul_f64 v[26:27], v[22:23], v[8:9]
	v_fmac_f64_e32 v[24:25], v[8:9], v[30:31]
	v_fmac_f64_e32 v[26:27], v[10:11], v[30:31]
	v_add_f64 v[8:9], v[16:17], -v[24:25]
	v_add_f64 v[10:11], v[18:19], -v[26:27]
	v_mul_f64 v[16:17], v[28:29], v[42:43]
	v_mul_f64 v[18:19], v[28:29], -v[40:41]
	v_fma_f64 v[16:17], -v[40:41], v[20:21], v[16:17]
	v_fma_f64 v[18:19], -v[42:43], v[20:21], v[18:19]
	s_waitcnt lgkmcnt(0)
	v_mul_f64 v[20:21], v[22:23], v[14:15]
	v_add_f64 v[6:7], v[6:7], -v[44:45]
	v_fma_f64 v[20:21], -v[12:13], v[30:31], v[20:21]
	v_mul_f64 v[12:13], v[22:23], -v[12:13]
	v_cmp_gt_u32_e32 vcc, 2, v0
	v_fma_f64 v[22:23], -v[14:15], v[30:31], v[12:13]
	s_waitcnt lgkmcnt(0)
	; wave barrier
	ds_write_b128 v1, v[4:7] offset:80
	ds_write_b128 v1, v[8:11] offset:320
	ds_write_b128 v1, v[16:19]
	ds_write_b128 v1, v[20:23] offset:160
	s_waitcnt lgkmcnt(0)
	; wave barrier
	s_waitcnt lgkmcnt(0)
	s_and_saveexec_b64 s[0:1], vcc
	s_cbranch_execz .LBB64_2
; %bb.1:
	v_add_u32_e32 v0, 0x50, v1
	ds_read_b128 v[4:7], v0 offset:32
	ds_read_b128 v[8:11], v0
	v_add_u32_e32 v0, 0xa0, v1
	ds_read_b128 v[12:15], v1 offset:32
	ds_read_b128 v[16:19], v0
	v_or_b32_e32 v0, 0x140, v1
	s_waitcnt lgkmcnt(2)
	v_mul_f64 v[22:23], v[10:11], v[4:5]
	v_mul_f64 v[20:21], v[10:11], -v[6:7]
	s_waitcnt lgkmcnt(0)
	v_mul_f64 v[26:27], v[14:15], v[16:17]
	v_fmac_f64_e32 v[22:23], v[6:7], v[8:9]
	v_mul_f64 v[24:25], v[14:15], -v[18:19]
	v_fmac_f64_e32 v[26:27], v[18:19], v[12:13]
	v_fmac_f64_e32 v[20:21], v[4:5], v[8:9]
	;; [unrolled: 1-line block ×3, first 2 shown]
	v_add_f64 v[26:27], v[22:23], -v[26:27]
	v_add_f64 v[24:25], v[20:21], -v[24:25]
	v_mul_f64 v[20:21], v[26:27], v[26:27]
	v_fmac_f64_e32 v[20:21], v[24:25], v[24:25]
	v_div_scale_f64 v[22:23], s[2:3], v[20:21], v[20:21], 1.0
	v_rcp_f64_e32 v[28:29], v[22:23]
	v_fma_f64 v[30:31], -v[22:23], v[28:29], 1.0
	v_fmac_f64_e32 v[28:29], v[28:29], v[30:31]
	v_fma_f64 v[30:31], -v[22:23], v[28:29], 1.0
	v_fmac_f64_e32 v[28:29], v[28:29], v[30:31]
	v_div_scale_f64 v[30:31], vcc, 1.0, v[20:21], 1.0
	v_mul_f64 v[32:33], v[30:31], v[28:29]
	v_fma_f64 v[22:23], -v[22:23], v[32:33], v[30:31]
	v_fma_f64 v[30:31], 0, v[26:27], v[24:25]
	s_nop 0
	v_div_fmas_f64 v[22:23], v[22:23], v[28:29], v[32:33]
	v_div_fixup_f64 v[28:29], v[22:23], v[20:21], 1.0
	ds_read_b128 v[20:23], v0
	v_fma_f64 v[24:25], v[24:25], 0, -v[26:27]
	v_mul_f64 v[30:31], v[30:31], v[28:29]
	v_mul_f64 v[28:29], v[24:25], v[28:29]
	ds_read_b128 v[24:27], v0 offset:32
	s_waitcnt lgkmcnt(1)
	v_mul_f64 v[32:33], v[22:23], -v[6:7]
	v_fmac_f64_e32 v[32:33], v[4:5], v[20:21]
	v_mul_f64 v[4:5], v[4:5], v[22:23]
	v_fmac_f64_e32 v[4:5], v[6:7], v[20:21]
	s_waitcnt lgkmcnt(0)
	v_mul_f64 v[6:7], v[26:27], -v[18:19]
	v_fmac_f64_e32 v[6:7], v[16:17], v[24:25]
	v_mul_f64 v[16:17], v[16:17], v[26:27]
	v_fmac_f64_e32 v[16:17], v[18:19], v[24:25]
	v_add_f64 v[16:17], v[4:5], -v[16:17]
	v_add_f64 v[6:7], v[32:33], -v[6:7]
	v_mul_f64 v[4:5], v[28:29], -v[16:17]
	v_fmac_f64_e32 v[4:5], v[6:7], v[30:31]
	v_mul_f64 v[6:7], v[28:29], v[6:7]
	v_fmac_f64_e32 v[6:7], v[16:17], v[30:31]
	ds_write_b128 v1, v[4:7] offset:240
	v_mul_f64 v[4:5], v[10:11], -v[26:27]
	v_mul_f64 v[6:7], v[10:11], v[24:25]
	v_fmac_f64_e32 v[4:5], v[24:25], v[8:9]
	v_fmac_f64_e32 v[6:7], v[26:27], v[8:9]
	v_mul_f64 v[8:9], v[14:15], -v[22:23]
	v_mul_f64 v[10:11], v[14:15], v[20:21]
	v_fmac_f64_e32 v[8:9], v[20:21], v[12:13]
	v_fmac_f64_e32 v[10:11], v[22:23], v[12:13]
	v_add_f64 v[8:9], v[4:5], -v[8:9]
	v_add_f64 v[10:11], v[6:7], -v[10:11]
	v_mul_f64 v[4:5], v[28:29], -v[10:11]
	v_mul_f64 v[6:7], v[28:29], v[8:9]
	v_fmac_f64_e32 v[4:5], v[8:9], v[30:31]
	v_fmac_f64_e32 v[6:7], v[10:11], v[30:31]
	ds_write_b128 v1, v[4:7] offset:272
.LBB64_2:
	s_or_b64 exec, exec, s[0:1]
	s_waitcnt lgkmcnt(0)
	; wave barrier
	s_waitcnt lgkmcnt(0)
	ds_read2_b64 v[4:7], v1 offset0:30 offset1:31
	s_waitcnt lgkmcnt(0)
	global_store_dwordx4 v[2:3], v[4:7], off
	s_endpgm
	.section	.rodata,"a",@progbits
	.p2align	6, 0x0
	.amdhsa_kernel _ZN9rocsparseL49gtsv_nopivot_strided_batch_pcr_pow2_shared_kernelILj4E21rocsparse_complex_numIdEEEviiiPKT0_S5_S5_PS3_
		.amdhsa_group_segment_fixed_size 400
		.amdhsa_private_segment_fixed_size 0
		.amdhsa_kernarg_size 48
		.amdhsa_user_sgpr_count 6
		.amdhsa_user_sgpr_private_segment_buffer 1
		.amdhsa_user_sgpr_dispatch_ptr 0
		.amdhsa_user_sgpr_queue_ptr 0
		.amdhsa_user_sgpr_kernarg_segment_ptr 1
		.amdhsa_user_sgpr_dispatch_id 0
		.amdhsa_user_sgpr_flat_scratch_init 0
		.amdhsa_user_sgpr_kernarg_preload_length 0
		.amdhsa_user_sgpr_kernarg_preload_offset 0
		.amdhsa_user_sgpr_private_segment_size 0
		.amdhsa_uses_dynamic_stack 0
		.amdhsa_system_sgpr_private_segment_wavefront_offset 0
		.amdhsa_system_sgpr_workgroup_id_x 1
		.amdhsa_system_sgpr_workgroup_id_y 0
		.amdhsa_system_sgpr_workgroup_id_z 0
		.amdhsa_system_sgpr_workgroup_info 0
		.amdhsa_system_vgpr_workitem_id 0
		.amdhsa_next_free_vgpr 57
		.amdhsa_next_free_sgpr 16
		.amdhsa_accum_offset 60
		.amdhsa_reserve_vcc 1
		.amdhsa_reserve_flat_scratch 0
		.amdhsa_float_round_mode_32 0
		.amdhsa_float_round_mode_16_64 0
		.amdhsa_float_denorm_mode_32 3
		.amdhsa_float_denorm_mode_16_64 3
		.amdhsa_dx10_clamp 1
		.amdhsa_ieee_mode 1
		.amdhsa_fp16_overflow 0
		.amdhsa_tg_split 0
		.amdhsa_exception_fp_ieee_invalid_op 0
		.amdhsa_exception_fp_denorm_src 0
		.amdhsa_exception_fp_ieee_div_zero 0
		.amdhsa_exception_fp_ieee_overflow 0
		.amdhsa_exception_fp_ieee_underflow 0
		.amdhsa_exception_fp_ieee_inexact 0
		.amdhsa_exception_int_div_zero 0
	.end_amdhsa_kernel
	.section	.text._ZN9rocsparseL49gtsv_nopivot_strided_batch_pcr_pow2_shared_kernelILj4E21rocsparse_complex_numIdEEEviiiPKT0_S5_S5_PS3_,"axG",@progbits,_ZN9rocsparseL49gtsv_nopivot_strided_batch_pcr_pow2_shared_kernelILj4E21rocsparse_complex_numIdEEEviiiPKT0_S5_S5_PS3_,comdat
.Lfunc_end64:
	.size	_ZN9rocsparseL49gtsv_nopivot_strided_batch_pcr_pow2_shared_kernelILj4E21rocsparse_complex_numIdEEEviiiPKT0_S5_S5_PS3_, .Lfunc_end64-_ZN9rocsparseL49gtsv_nopivot_strided_batch_pcr_pow2_shared_kernelILj4E21rocsparse_complex_numIdEEEviiiPKT0_S5_S5_PS3_
                                        ; -- End function
	.section	.AMDGPU.csdata,"",@progbits
; Kernel info:
; codeLenInByte = 1368
; NumSgprs: 20
; NumVgprs: 57
; NumAgprs: 0
; TotalNumVgprs: 57
; ScratchSize: 0
; MemoryBound: 0
; FloatMode: 240
; IeeeMode: 1
; LDSByteSize: 400 bytes/workgroup (compile time only)
; SGPRBlocks: 2
; VGPRBlocks: 7
; NumSGPRsForWavesPerEU: 20
; NumVGPRsForWavesPerEU: 57
; AccumOffset: 60
; Occupancy: 8
; WaveLimiterHint : 0
; COMPUTE_PGM_RSRC2:SCRATCH_EN: 0
; COMPUTE_PGM_RSRC2:USER_SGPR: 6
; COMPUTE_PGM_RSRC2:TRAP_HANDLER: 0
; COMPUTE_PGM_RSRC2:TGID_X_EN: 1
; COMPUTE_PGM_RSRC2:TGID_Y_EN: 0
; COMPUTE_PGM_RSRC2:TGID_Z_EN: 0
; COMPUTE_PGM_RSRC2:TIDIG_COMP_CNT: 0
; COMPUTE_PGM_RSRC3_GFX90A:ACCUM_OFFSET: 14
; COMPUTE_PGM_RSRC3_GFX90A:TG_SPLIT: 0
	.section	.text._ZN9rocsparseL49gtsv_nopivot_strided_batch_pcr_pow2_shared_kernelILj8E21rocsparse_complex_numIdEEEviiiPKT0_S5_S5_PS3_,"axG",@progbits,_ZN9rocsparseL49gtsv_nopivot_strided_batch_pcr_pow2_shared_kernelILj8E21rocsparse_complex_numIdEEEviiiPKT0_S5_S5_PS3_,comdat
	.globl	_ZN9rocsparseL49gtsv_nopivot_strided_batch_pcr_pow2_shared_kernelILj8E21rocsparse_complex_numIdEEEviiiPKT0_S5_S5_PS3_ ; -- Begin function _ZN9rocsparseL49gtsv_nopivot_strided_batch_pcr_pow2_shared_kernelILj8E21rocsparse_complex_numIdEEEviiiPKT0_S5_S5_PS3_
	.p2align	8
	.type	_ZN9rocsparseL49gtsv_nopivot_strided_batch_pcr_pow2_shared_kernelILj8E21rocsparse_complex_numIdEEEviiiPKT0_S5_S5_PS3_,@function
_ZN9rocsparseL49gtsv_nopivot_strided_batch_pcr_pow2_shared_kernelILj8E21rocsparse_complex_numIdEEEviiiPKT0_S5_S5_PS3_: ; @_ZN9rocsparseL49gtsv_nopivot_strided_batch_pcr_pow2_shared_kernelILj8E21rocsparse_complex_numIdEEEviiiPKT0_S5_S5_PS3_
; %bb.0:
	s_load_dword s0, s[4:5], 0x8
	s_load_dwordx8 s[8:15], s[4:5], 0x10
	v_max_u32_e32 v21, 1, v0
	v_lshlrev_b32_e32 v36, 4, v21
	v_min_u32_e32 v20, 6, v0
	s_waitcnt lgkmcnt(0)
	s_mul_i32 s6, s6, s0
	v_add_u32_e32 v2, s6, v0
	v_ashrrev_i32_e32 v3, 31, v2
	v_lshlrev_b64 v[2:3], 4, v[2:3]
	v_mov_b32_e32 v1, s9
	v_add_co_u32_e32 v4, vcc, s8, v2
	v_addc_co_u32_e32 v5, vcc, v1, v3, vcc
	v_mov_b32_e32 v1, s11
	v_add_co_u32_e32 v8, vcc, s10, v2
	v_addc_co_u32_e32 v9, vcc, v1, v3, vcc
	v_mov_b32_e32 v1, s13
	v_add_co_u32_e32 v12, vcc, s12, v2
	global_load_dwordx4 v[4:7], v[4:5], off
	v_addc_co_u32_e32 v13, vcc, v1, v3, vcc
	global_load_dwordx4 v[8:11], v[8:9], off
	v_mov_b32_e32 v1, s15
	v_add_co_u32_e32 v2, vcc, s14, v2
	global_load_dwordx4 v[12:15], v[12:13], off
	v_addc_co_u32_e32 v3, vcc, v1, v3, vcc
	global_load_dwordx4 v[16:19], v[2:3], off
	v_lshlrev_b32_e32 v1, 4, v0
	v_add_u32_e32 v40, -16, v36
	v_lshlrev_b32_e32 v56, 4, v20
	s_waitcnt vmcnt(3)
	ds_write2_b64 v1, v[4:5], v[6:7] offset1:1
	s_waitcnt vmcnt(2)
	ds_write2_b64 v1, v[8:9], v[10:11] offset0:18 offset1:19
	s_waitcnt vmcnt(1)
	ds_write2_b64 v1, v[12:13], v[14:15] offset0:36 offset1:37
	;; [unrolled: 2-line block ×3, first 2 shown]
	s_waitcnt lgkmcnt(0)
	; wave barrier
	s_waitcnt lgkmcnt(0)
	ds_read_b128 v[4:7], v36 offset:128
	ds_read_b128 v[8:11], v36 offset:272
	ds_read_b128 v[12:15], v1
	ds_read_b128 v[16:19], v1 offset:144
	ds_read_b128 v[20:23], v56 offset:160
	;; [unrolled: 1-line block ×6, first 2 shown]
	ds_read_b128 v[40:43], v40
	s_waitcnt lgkmcnt(9)
	v_mul_f64 v[44:45], v[6:7], v[6:7]
	s_waitcnt lgkmcnt(7)
	v_mul_f64 v[46:47], v[6:7], v[14:15]
	v_mul_f64 v[6:7], v[6:7], -v[12:13]
	s_waitcnt lgkmcnt(5)
	v_mul_f64 v[48:49], v[22:23], v[22:23]
	v_fmac_f64_e32 v[44:45], v[4:5], v[4:5]
	s_waitcnt lgkmcnt(3)
	v_mul_f64 v[50:51], v[22:23], v[30:31]
	v_mul_f64 v[22:23], v[22:23], -v[28:29]
	v_fmac_f64_e32 v[46:47], v[12:13], v[4:5]
	v_fmac_f64_e32 v[6:7], v[14:15], v[4:5]
	;; [unrolled: 1-line block ×3, first 2 shown]
	v_div_scale_f64 v[4:5], s[0:1], v[44:45], v[44:45], 1.0
	v_fmac_f64_e32 v[50:51], v[28:29], v[20:21]
	v_fmac_f64_e32 v[22:23], v[30:31], v[20:21]
	v_div_scale_f64 v[14:15], s[0:1], v[48:49], v[48:49], 1.0
	v_rcp_f64_e32 v[20:21], v[4:5]
	v_rcp_f64_e32 v[28:29], v[14:15]
	v_div_scale_f64 v[12:13], vcc, 1.0, v[44:45], 1.0
	v_fma_f64 v[52:53], -v[4:5], v[20:21], 1.0
	v_fma_f64 v[54:55], -v[14:15], v[28:29], 1.0
	v_fmac_f64_e32 v[20:21], v[20:21], v[52:53]
	v_fmac_f64_e32 v[28:29], v[28:29], v[54:55]
	v_fma_f64 v[52:53], -v[4:5], v[20:21], 1.0
	v_fma_f64 v[54:55], -v[14:15], v[28:29], 1.0
	v_fmac_f64_e32 v[20:21], v[20:21], v[52:53]
	v_div_scale_f64 v[30:31], s[0:1], 1.0, v[48:49], 1.0
	v_fmac_f64_e32 v[28:29], v[28:29], v[54:55]
	v_mul_f64 v[52:53], v[12:13], v[20:21]
	v_mul_f64 v[54:55], v[30:31], v[28:29]
	v_fma_f64 v[4:5], -v[4:5], v[52:53], v[12:13]
	v_fma_f64 v[12:13], -v[14:15], v[54:55], v[30:31]
	v_div_fmas_f64 v[4:5], v[4:5], v[20:21], v[52:53]
	s_mov_b64 vcc, s[0:1]
	v_div_fixup_f64 v[4:5], v[4:5], v[44:45], 1.0
	v_div_fmas_f64 v[12:13], v[12:13], v[28:29], v[54:55]
	v_mul_f64 v[20:21], v[4:5], v[46:47]
	v_mul_f64 v[28:29], v[4:5], v[6:7]
	v_div_fixup_f64 v[4:5], v[12:13], v[48:49], 1.0
	v_mul_f64 v[30:31], v[4:5], v[50:51]
	v_mul_f64 v[22:23], v[4:5], v[22:23]
	v_mul_f64 v[4:5], v[28:29], -v[10:11]
	v_mul_f64 v[6:7], v[28:29], v[8:9]
	v_fmac_f64_e32 v[4:5], v[8:9], v[20:21]
	v_mul_f64 v[8:9], v[22:23], -v[26:27]
	v_add_f64 v[4:5], v[16:17], -v[4:5]
	v_fmac_f64_e32 v[8:9], v[24:25], v[30:31]
	v_fmac_f64_e32 v[6:7], v[10:11], v[20:21]
	v_add_f64 v[4:5], v[4:5], -v[8:9]
	ds_read_b128 v[8:11], v56 offset:592
	s_waitcnt lgkmcnt(2)
	v_mul_f64 v[12:13], v[28:29], -v[38:39]
	v_mul_f64 v[14:15], v[28:29], v[36:37]
	v_fmac_f64_e32 v[12:13], v[36:37], v[20:21]
	v_fmac_f64_e32 v[14:15], v[38:39], v[20:21]
	v_add_f64 v[6:7], v[18:19], -v[6:7]
	v_add_f64 v[16:17], v[32:33], -v[12:13]
	;; [unrolled: 1-line block ×3, first 2 shown]
	ds_read_b128 v[12:15], v56 offset:304
	v_mul_f64 v[44:45], v[22:23], v[24:25]
	v_fmac_f64_e32 v[44:45], v[26:27], v[30:31]
	s_waitcnt lgkmcnt(1)
	v_mul_f64 v[24:25], v[22:23], -v[10:11]
	v_mul_f64 v[26:27], v[22:23], v[8:9]
	v_fmac_f64_e32 v[24:25], v[8:9], v[30:31]
	v_fmac_f64_e32 v[26:27], v[10:11], v[30:31]
	v_add_f64 v[8:9], v[16:17], -v[24:25]
	v_add_f64 v[10:11], v[18:19], -v[26:27]
	v_mul_f64 v[16:17], v[28:29], v[42:43]
	v_mul_f64 v[18:19], v[28:29], -v[40:41]
	v_fma_f64 v[16:17], -v[40:41], v[20:21], v[16:17]
	v_fma_f64 v[18:19], -v[42:43], v[20:21], v[18:19]
	s_waitcnt lgkmcnt(0)
	v_mul_f64 v[20:21], v[22:23], v[14:15]
	v_add_f64 v[6:7], v[6:7], -v[44:45]
	v_fma_f64 v[20:21], -v[12:13], v[30:31], v[20:21]
	v_mul_f64 v[12:13], v[22:23], -v[12:13]
	v_fma_f64 v[22:23], -v[14:15], v[30:31], v[12:13]
	s_waitcnt lgkmcnt(0)
	; wave barrier
	ds_write_b128 v1, v[4:7] offset:144
	ds_write_b128 v1, v[8:11] offset:576
	ds_write_b128 v1, v[16:19]
	ds_write_b128 v1, v[20:23] offset:288
	v_max_u32_e32 v4, 2, v0
	v_lshlrev_b32_e32 v38, 4, v4
	s_waitcnt lgkmcnt(0)
	; wave barrier
	s_waitcnt lgkmcnt(0)
	ds_read_b128 v[4:7], v38 offset:112
	ds_read_b128 v[8:11], v38 offset:256
	v_min_u32_e32 v22, 5, v0
	v_lshlrev_b32_e32 v40, 4, v22
	v_subrev_u32_e32 v39, 32, v38
	s_waitcnt lgkmcnt(1)
	v_mul_f64 v[16:17], v[6:7], v[6:7]
	v_fmac_f64_e32 v[16:17], v[4:5], v[4:5]
	v_div_scale_f64 v[12:13], s[0:1], v[16:17], v[16:17], 1.0
	v_rcp_f64_e32 v[14:15], v[12:13]
	v_fma_f64 v[18:19], -v[12:13], v[14:15], 1.0
	v_fmac_f64_e32 v[14:15], v[14:15], v[18:19]
	v_fma_f64 v[18:19], -v[12:13], v[14:15], 1.0
	v_fmac_f64_e32 v[14:15], v[14:15], v[18:19]
	v_div_scale_f64 v[18:19], vcc, 1.0, v[16:17], 1.0
	v_mul_f64 v[20:21], v[18:19], v[14:15]
	v_fma_f64 v[12:13], -v[12:13], v[20:21], v[18:19]
	s_nop 1
	v_div_fmas_f64 v[18:19], v[12:13], v[14:15], v[20:21]
	ds_read_b128 v[12:15], v1
	v_div_fixup_f64 v[28:29], v[18:19], v[16:17], 1.0
	ds_read_b128 v[16:19], v1 offset:144
	ds_read_b128 v[20:23], v40 offset:176
	s_waitcnt lgkmcnt(2)
	v_mul_f64 v[24:25], v[6:7], v[14:15]
	v_mul_f64 v[6:7], v[6:7], -v[12:13]
	s_waitcnt lgkmcnt(0)
	v_mul_f64 v[32:33], v[22:23], v[22:23]
	v_fmac_f64_e32 v[32:33], v[20:21], v[20:21]
	v_div_scale_f64 v[34:35], s[0:1], v[32:33], v[32:33], 1.0
	v_rcp_f64_e32 v[36:37], v[34:35]
	v_fmac_f64_e32 v[24:25], v[12:13], v[4:5]
	v_fmac_f64_e32 v[6:7], v[14:15], v[4:5]
	v_mul_f64 v[30:31], v[28:29], v[24:25]
	v_fma_f64 v[4:5], -v[34:35], v[36:37], 1.0
	v_fmac_f64_e32 v[36:37], v[36:37], v[4:5]
	v_fma_f64 v[4:5], -v[34:35], v[36:37], 1.0
	v_fmac_f64_e32 v[36:37], v[36:37], v[4:5]
	v_div_scale_f64 v[4:5], vcc, 1.0, v[32:33], 1.0
	v_mul_f64 v[12:13], v[4:5], v[36:37]
	v_mul_f64 v[28:29], v[28:29], v[6:7]
	v_fma_f64 v[14:15], -v[34:35], v[12:13], v[4:5]
	ds_read_b128 v[4:7], v1 offset:288
	v_div_fmas_f64 v[12:13], v[14:15], v[36:37], v[12:13]
	v_div_fixup_f64 v[32:33], v[12:13], v[32:33], 1.0
	ds_read_b128 v[12:15], v1 offset:576
	ds_read_b128 v[24:27], v40 offset:32
	s_waitcnt lgkmcnt(2)
	v_mul_f64 v[34:35], v[22:23], v[6:7]
	v_fmac_f64_e32 v[34:35], v[4:5], v[20:21]
	v_mul_f64 v[4:5], v[22:23], -v[4:5]
	v_fmac_f64_e32 v[4:5], v[6:7], v[20:21]
	ds_read_b128 v[20:23], v40 offset:608
	v_mul_f64 v[34:35], v[32:33], v[34:35]
	v_mul_f64 v[32:33], v[32:33], v[4:5]
	v_mul_f64 v[4:5], v[28:29], -v[10:11]
	v_mul_f64 v[6:7], v[28:29], v[8:9]
	v_fmac_f64_e32 v[4:5], v[8:9], v[30:31]
	v_fmac_f64_e32 v[6:7], v[10:11], v[30:31]
	v_add_f64 v[8:9], v[16:17], -v[4:5]
	v_add_f64 v[10:11], v[18:19], -v[6:7]
	ds_read_b128 v[4:7], v38 offset:544
	s_waitcnt lgkmcnt(2)
	v_mul_f64 v[16:17], v[32:33], -v[26:27]
	v_mul_f64 v[18:19], v[32:33], v[24:25]
	v_fmac_f64_e32 v[16:17], v[24:25], v[34:35]
	v_fmac_f64_e32 v[18:19], v[26:27], v[34:35]
	v_add_f64 v[8:9], v[8:9], -v[16:17]
	v_add_f64 v[10:11], v[10:11], -v[18:19]
	ds_read_b128 v[16:19], v39
	s_waitcnt lgkmcnt(1)
	v_mul_f64 v[24:25], v[28:29], -v[6:7]
	v_fmac_f64_e32 v[24:25], v[4:5], v[30:31]
	v_mul_f64 v[4:5], v[28:29], v[4:5]
	v_fmac_f64_e32 v[4:5], v[6:7], v[30:31]
	v_add_f64 v[12:13], v[12:13], -v[24:25]
	v_add_f64 v[14:15], v[14:15], -v[4:5]
	ds_read_b128 v[4:7], v40 offset:320
	v_mul_f64 v[24:25], v[32:33], -v[22:23]
	v_fmac_f64_e32 v[24:25], v[20:21], v[34:35]
	v_mul_f64 v[20:21], v[32:33], v[20:21]
	v_fmac_f64_e32 v[20:21], v[22:23], v[34:35]
	v_add_f64 v[14:15], v[14:15], -v[20:21]
	s_waitcnt lgkmcnt(1)
	v_mul_f64 v[20:21], v[28:29], v[18:19]
	v_fma_f64 v[20:21], -v[16:17], v[30:31], v[20:21]
	v_mul_f64 v[16:17], v[28:29], -v[16:17]
	v_fma_f64 v[22:23], -v[18:19], v[30:31], v[16:17]
	s_waitcnt lgkmcnt(0)
	v_mul_f64 v[16:17], v[32:33], v[6:7]
	v_fma_f64 v[16:17], -v[4:5], v[34:35], v[16:17]
	v_mul_f64 v[4:5], v[32:33], -v[4:5]
	v_cmp_gt_u32_e32 vcc, 4, v0
	v_add_f64 v[12:13], v[12:13], -v[24:25]
	v_fma_f64 v[18:19], -v[6:7], v[34:35], v[4:5]
	s_waitcnt lgkmcnt(0)
	; wave barrier
	ds_write_b128 v1, v[8:11] offset:144
	ds_write_b128 v1, v[12:15] offset:576
	ds_write_b128 v1, v[20:23]
	ds_write_b128 v1, v[16:19] offset:288
	s_waitcnt lgkmcnt(0)
	; wave barrier
	s_waitcnt lgkmcnt(0)
	s_and_saveexec_b64 s[0:1], vcc
	s_cbranch_execz .LBB65_2
; %bb.1:
	v_add_u32_e32 v0, 0x90, v1
	ds_read_b128 v[4:7], v0 offset:64
	ds_read_b128 v[8:11], v0
	v_add_u32_e32 v0, 0x120, v1
	ds_read_b128 v[12:15], v1 offset:64
	ds_read_b128 v[16:19], v0
	v_add_u32_e32 v0, 0x240, v1
	s_waitcnt lgkmcnt(2)
	v_mul_f64 v[22:23], v[10:11], v[4:5]
	v_mul_f64 v[20:21], v[10:11], -v[6:7]
	s_waitcnt lgkmcnt(0)
	v_mul_f64 v[26:27], v[14:15], v[16:17]
	v_fmac_f64_e32 v[22:23], v[6:7], v[8:9]
	v_mul_f64 v[24:25], v[14:15], -v[18:19]
	v_fmac_f64_e32 v[26:27], v[18:19], v[12:13]
	v_fmac_f64_e32 v[20:21], v[4:5], v[8:9]
	;; [unrolled: 1-line block ×3, first 2 shown]
	v_add_f64 v[26:27], v[22:23], -v[26:27]
	v_add_f64 v[24:25], v[20:21], -v[24:25]
	v_mul_f64 v[20:21], v[26:27], v[26:27]
	v_fmac_f64_e32 v[20:21], v[24:25], v[24:25]
	v_div_scale_f64 v[22:23], s[2:3], v[20:21], v[20:21], 1.0
	v_rcp_f64_e32 v[28:29], v[22:23]
	v_fma_f64 v[30:31], -v[22:23], v[28:29], 1.0
	v_fmac_f64_e32 v[28:29], v[28:29], v[30:31]
	v_fma_f64 v[30:31], -v[22:23], v[28:29], 1.0
	v_fmac_f64_e32 v[28:29], v[28:29], v[30:31]
	v_div_scale_f64 v[30:31], vcc, 1.0, v[20:21], 1.0
	v_mul_f64 v[32:33], v[30:31], v[28:29]
	v_fma_f64 v[22:23], -v[22:23], v[32:33], v[30:31]
	v_fma_f64 v[30:31], 0, v[26:27], v[24:25]
	s_nop 0
	v_div_fmas_f64 v[22:23], v[22:23], v[28:29], v[32:33]
	v_div_fixup_f64 v[28:29], v[22:23], v[20:21], 1.0
	ds_read_b128 v[20:23], v0
	v_fma_f64 v[24:25], v[24:25], 0, -v[26:27]
	v_mul_f64 v[30:31], v[30:31], v[28:29]
	v_mul_f64 v[28:29], v[24:25], v[28:29]
	ds_read_b128 v[24:27], v0 offset:64
	s_waitcnt lgkmcnt(1)
	v_mul_f64 v[32:33], v[22:23], -v[6:7]
	v_fmac_f64_e32 v[32:33], v[4:5], v[20:21]
	v_mul_f64 v[4:5], v[4:5], v[22:23]
	v_fmac_f64_e32 v[4:5], v[6:7], v[20:21]
	s_waitcnt lgkmcnt(0)
	v_mul_f64 v[6:7], v[26:27], -v[18:19]
	v_fmac_f64_e32 v[6:7], v[16:17], v[24:25]
	v_mul_f64 v[16:17], v[16:17], v[26:27]
	v_fmac_f64_e32 v[16:17], v[18:19], v[24:25]
	v_add_f64 v[16:17], v[4:5], -v[16:17]
	v_add_f64 v[6:7], v[32:33], -v[6:7]
	v_mul_f64 v[4:5], v[28:29], -v[16:17]
	v_fmac_f64_e32 v[4:5], v[6:7], v[30:31]
	v_mul_f64 v[6:7], v[28:29], v[6:7]
	v_fmac_f64_e32 v[6:7], v[16:17], v[30:31]
	ds_write_b128 v1, v[4:7] offset:432
	v_mul_f64 v[4:5], v[10:11], -v[26:27]
	v_mul_f64 v[6:7], v[10:11], v[24:25]
	v_fmac_f64_e32 v[4:5], v[24:25], v[8:9]
	v_fmac_f64_e32 v[6:7], v[26:27], v[8:9]
	v_mul_f64 v[8:9], v[14:15], -v[22:23]
	v_mul_f64 v[10:11], v[14:15], v[20:21]
	v_fmac_f64_e32 v[8:9], v[20:21], v[12:13]
	v_fmac_f64_e32 v[10:11], v[22:23], v[12:13]
	v_add_f64 v[8:9], v[4:5], -v[8:9]
	v_add_f64 v[10:11], v[6:7], -v[10:11]
	v_mul_f64 v[4:5], v[28:29], -v[10:11]
	v_mul_f64 v[6:7], v[28:29], v[8:9]
	v_fmac_f64_e32 v[4:5], v[8:9], v[30:31]
	v_fmac_f64_e32 v[6:7], v[10:11], v[30:31]
	ds_write_b128 v1, v[4:7] offset:496
.LBB65_2:
	s_or_b64 exec, exec, s[0:1]
	s_waitcnt lgkmcnt(0)
	; wave barrier
	s_waitcnt lgkmcnt(0)
	ds_read2_b64 v[4:7], v1 offset0:54 offset1:55
	s_waitcnt lgkmcnt(0)
	global_store_dwordx4 v[2:3], v[4:7], off
	s_endpgm
	.section	.rodata,"a",@progbits
	.p2align	6, 0x0
	.amdhsa_kernel _ZN9rocsparseL49gtsv_nopivot_strided_batch_pcr_pow2_shared_kernelILj8E21rocsparse_complex_numIdEEEviiiPKT0_S5_S5_PS3_
		.amdhsa_group_segment_fixed_size 720
		.amdhsa_private_segment_fixed_size 0
		.amdhsa_kernarg_size 48
		.amdhsa_user_sgpr_count 6
		.amdhsa_user_sgpr_private_segment_buffer 1
		.amdhsa_user_sgpr_dispatch_ptr 0
		.amdhsa_user_sgpr_queue_ptr 0
		.amdhsa_user_sgpr_kernarg_segment_ptr 1
		.amdhsa_user_sgpr_dispatch_id 0
		.amdhsa_user_sgpr_flat_scratch_init 0
		.amdhsa_user_sgpr_kernarg_preload_length 0
		.amdhsa_user_sgpr_kernarg_preload_offset 0
		.amdhsa_user_sgpr_private_segment_size 0
		.amdhsa_uses_dynamic_stack 0
		.amdhsa_system_sgpr_private_segment_wavefront_offset 0
		.amdhsa_system_sgpr_workgroup_id_x 1
		.amdhsa_system_sgpr_workgroup_id_y 0
		.amdhsa_system_sgpr_workgroup_id_z 0
		.amdhsa_system_sgpr_workgroup_info 0
		.amdhsa_system_vgpr_workitem_id 0
		.amdhsa_next_free_vgpr 57
		.amdhsa_next_free_sgpr 16
		.amdhsa_accum_offset 60
		.amdhsa_reserve_vcc 1
		.amdhsa_reserve_flat_scratch 0
		.amdhsa_float_round_mode_32 0
		.amdhsa_float_round_mode_16_64 0
		.amdhsa_float_denorm_mode_32 3
		.amdhsa_float_denorm_mode_16_64 3
		.amdhsa_dx10_clamp 1
		.amdhsa_ieee_mode 1
		.amdhsa_fp16_overflow 0
		.amdhsa_tg_split 0
		.amdhsa_exception_fp_ieee_invalid_op 0
		.amdhsa_exception_fp_denorm_src 0
		.amdhsa_exception_fp_ieee_div_zero 0
		.amdhsa_exception_fp_ieee_overflow 0
		.amdhsa_exception_fp_ieee_underflow 0
		.amdhsa_exception_fp_ieee_inexact 0
		.amdhsa_exception_int_div_zero 0
	.end_amdhsa_kernel
	.section	.text._ZN9rocsparseL49gtsv_nopivot_strided_batch_pcr_pow2_shared_kernelILj8E21rocsparse_complex_numIdEEEviiiPKT0_S5_S5_PS3_,"axG",@progbits,_ZN9rocsparseL49gtsv_nopivot_strided_batch_pcr_pow2_shared_kernelILj8E21rocsparse_complex_numIdEEEviiiPKT0_S5_S5_PS3_,comdat
.Lfunc_end65:
	.size	_ZN9rocsparseL49gtsv_nopivot_strided_batch_pcr_pow2_shared_kernelILj8E21rocsparse_complex_numIdEEEviiiPKT0_S5_S5_PS3_, .Lfunc_end65-_ZN9rocsparseL49gtsv_nopivot_strided_batch_pcr_pow2_shared_kernelILj8E21rocsparse_complex_numIdEEEviiiPKT0_S5_S5_PS3_
                                        ; -- End function
	.section	.AMDGPU.csdata,"",@progbits
; Kernel info:
; codeLenInByte = 2044
; NumSgprs: 20
; NumVgprs: 57
; NumAgprs: 0
; TotalNumVgprs: 57
; ScratchSize: 0
; MemoryBound: 0
; FloatMode: 240
; IeeeMode: 1
; LDSByteSize: 720 bytes/workgroup (compile time only)
; SGPRBlocks: 2
; VGPRBlocks: 7
; NumSGPRsForWavesPerEU: 20
; NumVGPRsForWavesPerEU: 57
; AccumOffset: 60
; Occupancy: 8
; WaveLimiterHint : 0
; COMPUTE_PGM_RSRC2:SCRATCH_EN: 0
; COMPUTE_PGM_RSRC2:USER_SGPR: 6
; COMPUTE_PGM_RSRC2:TRAP_HANDLER: 0
; COMPUTE_PGM_RSRC2:TGID_X_EN: 1
; COMPUTE_PGM_RSRC2:TGID_Y_EN: 0
; COMPUTE_PGM_RSRC2:TGID_Z_EN: 0
; COMPUTE_PGM_RSRC2:TIDIG_COMP_CNT: 0
; COMPUTE_PGM_RSRC3_GFX90A:ACCUM_OFFSET: 14
; COMPUTE_PGM_RSRC3_GFX90A:TG_SPLIT: 0
	.section	.text._ZN9rocsparseL49gtsv_nopivot_strided_batch_pcr_pow2_shared_kernelILj16E21rocsparse_complex_numIdEEEviiiPKT0_S5_S5_PS3_,"axG",@progbits,_ZN9rocsparseL49gtsv_nopivot_strided_batch_pcr_pow2_shared_kernelILj16E21rocsparse_complex_numIdEEEviiiPKT0_S5_S5_PS3_,comdat
	.globl	_ZN9rocsparseL49gtsv_nopivot_strided_batch_pcr_pow2_shared_kernelILj16E21rocsparse_complex_numIdEEEviiiPKT0_S5_S5_PS3_ ; -- Begin function _ZN9rocsparseL49gtsv_nopivot_strided_batch_pcr_pow2_shared_kernelILj16E21rocsparse_complex_numIdEEEviiiPKT0_S5_S5_PS3_
	.p2align	8
	.type	_ZN9rocsparseL49gtsv_nopivot_strided_batch_pcr_pow2_shared_kernelILj16E21rocsparse_complex_numIdEEEviiiPKT0_S5_S5_PS3_,@function
_ZN9rocsparseL49gtsv_nopivot_strided_batch_pcr_pow2_shared_kernelILj16E21rocsparse_complex_numIdEEEviiiPKT0_S5_S5_PS3_: ; @_ZN9rocsparseL49gtsv_nopivot_strided_batch_pcr_pow2_shared_kernelILj16E21rocsparse_complex_numIdEEEviiiPKT0_S5_S5_PS3_
; %bb.0:
	s_load_dword s0, s[4:5], 0x8
	s_load_dwordx8 s[8:15], s[4:5], 0x10
	v_max_u32_e32 v21, 1, v0
	v_lshlrev_b32_e32 v36, 4, v21
	v_min_u32_e32 v20, 14, v0
	s_waitcnt lgkmcnt(0)
	s_mul_i32 s6, s6, s0
	v_add_u32_e32 v2, s6, v0
	v_ashrrev_i32_e32 v3, 31, v2
	v_lshlrev_b64 v[2:3], 4, v[2:3]
	v_mov_b32_e32 v1, s9
	v_add_co_u32_e32 v4, vcc, s8, v2
	v_addc_co_u32_e32 v5, vcc, v1, v3, vcc
	v_mov_b32_e32 v1, s11
	v_add_co_u32_e32 v8, vcc, s10, v2
	v_addc_co_u32_e32 v9, vcc, v1, v3, vcc
	v_mov_b32_e32 v1, s13
	v_add_co_u32_e32 v12, vcc, s12, v2
	global_load_dwordx4 v[4:7], v[4:5], off
	v_addc_co_u32_e32 v13, vcc, v1, v3, vcc
	global_load_dwordx4 v[8:11], v[8:9], off
	v_mov_b32_e32 v1, s15
	v_add_co_u32_e32 v2, vcc, s14, v2
	global_load_dwordx4 v[12:15], v[12:13], off
	v_addc_co_u32_e32 v3, vcc, v1, v3, vcc
	global_load_dwordx4 v[16:19], v[2:3], off
	v_lshlrev_b32_e32 v1, 4, v0
	v_add_u32_e32 v40, -16, v36
	v_lshlrev_b32_e32 v56, 4, v20
	s_waitcnt vmcnt(3)
	ds_write2_b64 v1, v[4:5], v[6:7] offset1:1
	s_waitcnt vmcnt(2)
	ds_write2_b64 v1, v[8:9], v[10:11] offset0:34 offset1:35
	s_waitcnt vmcnt(1)
	ds_write2_b64 v1, v[12:13], v[14:15] offset0:68 offset1:69
	;; [unrolled: 2-line block ×3, first 2 shown]
	s_waitcnt lgkmcnt(0)
	; wave barrier
	s_waitcnt lgkmcnt(0)
	ds_read_b128 v[4:7], v36 offset:256
	ds_read_b128 v[8:11], v36 offset:528
	ds_read_b128 v[12:15], v1
	ds_read_b128 v[16:19], v1 offset:272
	ds_read_b128 v[20:23], v56 offset:288
	;; [unrolled: 1-line block ×6, first 2 shown]
	ds_read_b128 v[40:43], v40
	s_waitcnt lgkmcnt(9)
	v_mul_f64 v[44:45], v[6:7], v[6:7]
	s_waitcnt lgkmcnt(7)
	v_mul_f64 v[46:47], v[6:7], v[14:15]
	v_mul_f64 v[6:7], v[6:7], -v[12:13]
	s_waitcnt lgkmcnt(5)
	v_mul_f64 v[48:49], v[22:23], v[22:23]
	v_fmac_f64_e32 v[44:45], v[4:5], v[4:5]
	s_waitcnt lgkmcnt(3)
	v_mul_f64 v[50:51], v[22:23], v[30:31]
	v_mul_f64 v[22:23], v[22:23], -v[28:29]
	v_fmac_f64_e32 v[46:47], v[12:13], v[4:5]
	v_fmac_f64_e32 v[6:7], v[14:15], v[4:5]
	;; [unrolled: 1-line block ×3, first 2 shown]
	v_div_scale_f64 v[4:5], s[0:1], v[44:45], v[44:45], 1.0
	v_fmac_f64_e32 v[50:51], v[28:29], v[20:21]
	v_fmac_f64_e32 v[22:23], v[30:31], v[20:21]
	v_div_scale_f64 v[14:15], s[0:1], v[48:49], v[48:49], 1.0
	v_rcp_f64_e32 v[20:21], v[4:5]
	v_rcp_f64_e32 v[28:29], v[14:15]
	v_div_scale_f64 v[12:13], vcc, 1.0, v[44:45], 1.0
	v_fma_f64 v[52:53], -v[4:5], v[20:21], 1.0
	v_fma_f64 v[54:55], -v[14:15], v[28:29], 1.0
	v_fmac_f64_e32 v[20:21], v[20:21], v[52:53]
	v_fmac_f64_e32 v[28:29], v[28:29], v[54:55]
	v_fma_f64 v[52:53], -v[4:5], v[20:21], 1.0
	v_fma_f64 v[54:55], -v[14:15], v[28:29], 1.0
	v_fmac_f64_e32 v[20:21], v[20:21], v[52:53]
	v_div_scale_f64 v[30:31], s[0:1], 1.0, v[48:49], 1.0
	v_fmac_f64_e32 v[28:29], v[28:29], v[54:55]
	v_mul_f64 v[52:53], v[12:13], v[20:21]
	v_mul_f64 v[54:55], v[30:31], v[28:29]
	v_fma_f64 v[4:5], -v[4:5], v[52:53], v[12:13]
	v_fma_f64 v[12:13], -v[14:15], v[54:55], v[30:31]
	v_div_fmas_f64 v[4:5], v[4:5], v[20:21], v[52:53]
	s_mov_b64 vcc, s[0:1]
	v_div_fixup_f64 v[4:5], v[4:5], v[44:45], 1.0
	v_div_fmas_f64 v[12:13], v[12:13], v[28:29], v[54:55]
	v_mul_f64 v[20:21], v[4:5], v[46:47]
	v_mul_f64 v[28:29], v[4:5], v[6:7]
	v_div_fixup_f64 v[4:5], v[12:13], v[48:49], 1.0
	v_mul_f64 v[30:31], v[4:5], v[50:51]
	v_mul_f64 v[22:23], v[4:5], v[22:23]
	v_mul_f64 v[4:5], v[28:29], -v[10:11]
	v_mul_f64 v[6:7], v[28:29], v[8:9]
	v_fmac_f64_e32 v[4:5], v[8:9], v[20:21]
	v_mul_f64 v[8:9], v[22:23], -v[26:27]
	v_add_f64 v[4:5], v[16:17], -v[4:5]
	v_fmac_f64_e32 v[8:9], v[24:25], v[30:31]
	v_fmac_f64_e32 v[6:7], v[10:11], v[20:21]
	v_add_f64 v[4:5], v[4:5], -v[8:9]
	ds_read_b128 v[8:11], v56 offset:1104
	s_waitcnt lgkmcnt(2)
	v_mul_f64 v[12:13], v[28:29], -v[38:39]
	v_mul_f64 v[14:15], v[28:29], v[36:37]
	v_fmac_f64_e32 v[12:13], v[36:37], v[20:21]
	v_fmac_f64_e32 v[14:15], v[38:39], v[20:21]
	v_add_f64 v[6:7], v[18:19], -v[6:7]
	v_add_f64 v[16:17], v[32:33], -v[12:13]
	v_add_f64 v[18:19], v[34:35], -v[14:15]
	ds_read_b128 v[12:15], v56 offset:560
	v_mul_f64 v[44:45], v[22:23], v[24:25]
	v_fmac_f64_e32 v[44:45], v[26:27], v[30:31]
	s_waitcnt lgkmcnt(1)
	v_mul_f64 v[24:25], v[22:23], -v[10:11]
	v_mul_f64 v[26:27], v[22:23], v[8:9]
	v_fmac_f64_e32 v[24:25], v[8:9], v[30:31]
	v_fmac_f64_e32 v[26:27], v[10:11], v[30:31]
	v_add_f64 v[8:9], v[16:17], -v[24:25]
	v_add_f64 v[10:11], v[18:19], -v[26:27]
	v_mul_f64 v[16:17], v[28:29], v[42:43]
	v_mul_f64 v[18:19], v[28:29], -v[40:41]
	v_fma_f64 v[16:17], -v[40:41], v[20:21], v[16:17]
	v_fma_f64 v[18:19], -v[42:43], v[20:21], v[18:19]
	s_waitcnt lgkmcnt(0)
	v_mul_f64 v[20:21], v[22:23], v[14:15]
	v_add_f64 v[6:7], v[6:7], -v[44:45]
	v_fma_f64 v[20:21], -v[12:13], v[30:31], v[20:21]
	v_mul_f64 v[12:13], v[22:23], -v[12:13]
	v_fma_f64 v[22:23], -v[14:15], v[30:31], v[12:13]
	s_waitcnt lgkmcnt(0)
	; wave barrier
	ds_write_b128 v1, v[4:7] offset:272
	ds_write_b128 v1, v[8:11] offset:1088
	ds_write_b128 v1, v[16:19]
	ds_write_b128 v1, v[20:23] offset:544
	v_max_u32_e32 v4, 2, v0
	v_lshlrev_b32_e32 v38, 4, v4
	s_waitcnt lgkmcnt(0)
	; wave barrier
	s_waitcnt lgkmcnt(0)
	ds_read_b128 v[4:7], v38 offset:240
	ds_read_b128 v[8:11], v38 offset:512
	v_min_u32_e32 v22, 13, v0
	v_lshlrev_b32_e32 v40, 4, v22
	v_subrev_u32_e32 v39, 32, v38
	s_waitcnt lgkmcnt(1)
	v_mul_f64 v[16:17], v[6:7], v[6:7]
	v_fmac_f64_e32 v[16:17], v[4:5], v[4:5]
	v_div_scale_f64 v[12:13], s[0:1], v[16:17], v[16:17], 1.0
	v_rcp_f64_e32 v[14:15], v[12:13]
	v_fma_f64 v[18:19], -v[12:13], v[14:15], 1.0
	v_fmac_f64_e32 v[14:15], v[14:15], v[18:19]
	v_fma_f64 v[18:19], -v[12:13], v[14:15], 1.0
	v_fmac_f64_e32 v[14:15], v[14:15], v[18:19]
	v_div_scale_f64 v[18:19], vcc, 1.0, v[16:17], 1.0
	v_mul_f64 v[20:21], v[18:19], v[14:15]
	v_fma_f64 v[12:13], -v[12:13], v[20:21], v[18:19]
	s_nop 1
	v_div_fmas_f64 v[18:19], v[12:13], v[14:15], v[20:21]
	ds_read_b128 v[12:15], v1
	v_div_fixup_f64 v[28:29], v[18:19], v[16:17], 1.0
	ds_read_b128 v[16:19], v1 offset:272
	ds_read_b128 v[20:23], v40 offset:304
	s_waitcnt lgkmcnt(2)
	v_mul_f64 v[24:25], v[6:7], v[14:15]
	v_mul_f64 v[6:7], v[6:7], -v[12:13]
	s_waitcnt lgkmcnt(0)
	v_mul_f64 v[32:33], v[22:23], v[22:23]
	v_fmac_f64_e32 v[32:33], v[20:21], v[20:21]
	v_div_scale_f64 v[34:35], s[0:1], v[32:33], v[32:33], 1.0
	v_rcp_f64_e32 v[36:37], v[34:35]
	v_fmac_f64_e32 v[24:25], v[12:13], v[4:5]
	v_fmac_f64_e32 v[6:7], v[14:15], v[4:5]
	v_mul_f64 v[30:31], v[28:29], v[24:25]
	v_fma_f64 v[4:5], -v[34:35], v[36:37], 1.0
	v_fmac_f64_e32 v[36:37], v[36:37], v[4:5]
	v_fma_f64 v[4:5], -v[34:35], v[36:37], 1.0
	v_fmac_f64_e32 v[36:37], v[36:37], v[4:5]
	v_div_scale_f64 v[4:5], vcc, 1.0, v[32:33], 1.0
	v_mul_f64 v[12:13], v[4:5], v[36:37]
	v_mul_f64 v[28:29], v[28:29], v[6:7]
	v_fma_f64 v[14:15], -v[34:35], v[12:13], v[4:5]
	ds_read_b128 v[4:7], v1 offset:544
	v_div_fmas_f64 v[12:13], v[14:15], v[36:37], v[12:13]
	v_div_fixup_f64 v[32:33], v[12:13], v[32:33], 1.0
	ds_read_b128 v[12:15], v1 offset:1088
	ds_read_b128 v[24:27], v40 offset:32
	s_waitcnt lgkmcnt(2)
	v_mul_f64 v[34:35], v[22:23], v[6:7]
	v_fmac_f64_e32 v[34:35], v[4:5], v[20:21]
	v_mul_f64 v[4:5], v[22:23], -v[4:5]
	v_fmac_f64_e32 v[4:5], v[6:7], v[20:21]
	ds_read_b128 v[20:23], v40 offset:1120
	v_mul_f64 v[34:35], v[32:33], v[34:35]
	v_mul_f64 v[32:33], v[32:33], v[4:5]
	v_mul_f64 v[4:5], v[28:29], -v[10:11]
	v_mul_f64 v[6:7], v[28:29], v[8:9]
	v_fmac_f64_e32 v[4:5], v[8:9], v[30:31]
	v_fmac_f64_e32 v[6:7], v[10:11], v[30:31]
	v_add_f64 v[8:9], v[16:17], -v[4:5]
	v_add_f64 v[10:11], v[18:19], -v[6:7]
	ds_read_b128 v[4:7], v38 offset:1056
	s_waitcnt lgkmcnt(2)
	v_mul_f64 v[16:17], v[32:33], -v[26:27]
	v_mul_f64 v[18:19], v[32:33], v[24:25]
	v_fmac_f64_e32 v[16:17], v[24:25], v[34:35]
	v_fmac_f64_e32 v[18:19], v[26:27], v[34:35]
	v_add_f64 v[8:9], v[8:9], -v[16:17]
	v_add_f64 v[10:11], v[10:11], -v[18:19]
	ds_read_b128 v[16:19], v39
	s_waitcnt lgkmcnt(1)
	v_mul_f64 v[24:25], v[28:29], -v[6:7]
	v_fmac_f64_e32 v[24:25], v[4:5], v[30:31]
	v_mul_f64 v[4:5], v[28:29], v[4:5]
	v_fmac_f64_e32 v[4:5], v[6:7], v[30:31]
	v_add_f64 v[12:13], v[12:13], -v[24:25]
	v_add_f64 v[14:15], v[14:15], -v[4:5]
	ds_read_b128 v[4:7], v40 offset:576
	v_mul_f64 v[24:25], v[32:33], -v[22:23]
	v_fmac_f64_e32 v[24:25], v[20:21], v[34:35]
	v_mul_f64 v[20:21], v[32:33], v[20:21]
	v_fmac_f64_e32 v[20:21], v[22:23], v[34:35]
	v_add_f64 v[14:15], v[14:15], -v[20:21]
	s_waitcnt lgkmcnt(1)
	v_mul_f64 v[20:21], v[28:29], v[18:19]
	v_fma_f64 v[20:21], -v[16:17], v[30:31], v[20:21]
	v_mul_f64 v[16:17], v[28:29], -v[16:17]
	v_fma_f64 v[22:23], -v[18:19], v[30:31], v[16:17]
	s_waitcnt lgkmcnt(0)
	v_mul_f64 v[16:17], v[32:33], v[6:7]
	v_fma_f64 v[16:17], -v[4:5], v[34:35], v[16:17]
	v_mul_f64 v[4:5], v[32:33], -v[4:5]
	v_fma_f64 v[18:19], -v[6:7], v[34:35], v[4:5]
	v_max_u32_e32 v4, 4, v0
	v_lshlrev_b32_e32 v38, 4, v4
	v_add_f64 v[12:13], v[12:13], -v[24:25]
	s_waitcnt lgkmcnt(0)
	; wave barrier
	ds_write_b128 v1, v[8:11] offset:272
	ds_write_b128 v1, v[12:15] offset:1088
	ds_write_b128 v1, v[20:23]
	ds_write_b128 v1, v[16:19] offset:544
	s_waitcnt lgkmcnt(0)
	; wave barrier
	s_waitcnt lgkmcnt(0)
	ds_read_b128 v[4:7], v38 offset:208
	ds_read_b128 v[8:11], v38 offset:480
	v_min_u32_e32 v22, 11, v0
	v_lshlrev_b32_e32 v40, 4, v22
	v_subrev_u32_e32 v39, 64, v38
	s_waitcnt lgkmcnt(1)
	v_mul_f64 v[16:17], v[6:7], v[6:7]
	v_fmac_f64_e32 v[16:17], v[4:5], v[4:5]
	v_div_scale_f64 v[12:13], s[0:1], v[16:17], v[16:17], 1.0
	v_rcp_f64_e32 v[14:15], v[12:13]
	v_fma_f64 v[18:19], -v[12:13], v[14:15], 1.0
	v_fmac_f64_e32 v[14:15], v[14:15], v[18:19]
	v_fma_f64 v[18:19], -v[12:13], v[14:15], 1.0
	v_fmac_f64_e32 v[14:15], v[14:15], v[18:19]
	v_div_scale_f64 v[18:19], vcc, 1.0, v[16:17], 1.0
	v_mul_f64 v[20:21], v[18:19], v[14:15]
	v_fma_f64 v[12:13], -v[12:13], v[20:21], v[18:19]
	s_nop 1
	v_div_fmas_f64 v[18:19], v[12:13], v[14:15], v[20:21]
	ds_read_b128 v[12:15], v1
	v_div_fixup_f64 v[28:29], v[18:19], v[16:17], 1.0
	ds_read_b128 v[16:19], v1 offset:272
	ds_read_b128 v[20:23], v40 offset:336
	s_waitcnt lgkmcnt(2)
	v_mul_f64 v[24:25], v[6:7], v[14:15]
	v_mul_f64 v[6:7], v[6:7], -v[12:13]
	s_waitcnt lgkmcnt(0)
	v_mul_f64 v[32:33], v[22:23], v[22:23]
	v_fmac_f64_e32 v[32:33], v[20:21], v[20:21]
	v_div_scale_f64 v[34:35], s[0:1], v[32:33], v[32:33], 1.0
	v_rcp_f64_e32 v[36:37], v[34:35]
	v_fmac_f64_e32 v[24:25], v[12:13], v[4:5]
	v_fmac_f64_e32 v[6:7], v[14:15], v[4:5]
	v_mul_f64 v[30:31], v[28:29], v[24:25]
	v_fma_f64 v[4:5], -v[34:35], v[36:37], 1.0
	v_fmac_f64_e32 v[36:37], v[36:37], v[4:5]
	v_fma_f64 v[4:5], -v[34:35], v[36:37], 1.0
	v_fmac_f64_e32 v[36:37], v[36:37], v[4:5]
	v_div_scale_f64 v[4:5], vcc, 1.0, v[32:33], 1.0
	v_mul_f64 v[12:13], v[4:5], v[36:37]
	v_mul_f64 v[28:29], v[28:29], v[6:7]
	v_fma_f64 v[14:15], -v[34:35], v[12:13], v[4:5]
	ds_read_b128 v[4:7], v1 offset:544
	v_div_fmas_f64 v[12:13], v[14:15], v[36:37], v[12:13]
	v_div_fixup_f64 v[32:33], v[12:13], v[32:33], 1.0
	ds_read_b128 v[12:15], v1 offset:1088
	ds_read_b128 v[24:27], v40 offset:64
	s_waitcnt lgkmcnt(2)
	v_mul_f64 v[34:35], v[22:23], v[6:7]
	v_fmac_f64_e32 v[34:35], v[4:5], v[20:21]
	v_mul_f64 v[4:5], v[22:23], -v[4:5]
	v_fmac_f64_e32 v[4:5], v[6:7], v[20:21]
	ds_read_b128 v[20:23], v40 offset:1152
	v_mul_f64 v[34:35], v[32:33], v[34:35]
	v_mul_f64 v[32:33], v[32:33], v[4:5]
	v_mul_f64 v[4:5], v[28:29], -v[10:11]
	v_mul_f64 v[6:7], v[28:29], v[8:9]
	v_fmac_f64_e32 v[4:5], v[8:9], v[30:31]
	v_fmac_f64_e32 v[6:7], v[10:11], v[30:31]
	v_add_f64 v[8:9], v[16:17], -v[4:5]
	v_add_f64 v[10:11], v[18:19], -v[6:7]
	ds_read_b128 v[4:7], v38 offset:1024
	s_waitcnt lgkmcnt(2)
	v_mul_f64 v[16:17], v[32:33], -v[26:27]
	v_mul_f64 v[18:19], v[32:33], v[24:25]
	v_fmac_f64_e32 v[16:17], v[24:25], v[34:35]
	v_fmac_f64_e32 v[18:19], v[26:27], v[34:35]
	v_add_f64 v[8:9], v[8:9], -v[16:17]
	v_add_f64 v[10:11], v[10:11], -v[18:19]
	ds_read_b128 v[16:19], v39
	s_waitcnt lgkmcnt(1)
	v_mul_f64 v[24:25], v[28:29], -v[6:7]
	v_fmac_f64_e32 v[24:25], v[4:5], v[30:31]
	v_mul_f64 v[4:5], v[28:29], v[4:5]
	v_fmac_f64_e32 v[4:5], v[6:7], v[30:31]
	v_add_f64 v[12:13], v[12:13], -v[24:25]
	v_add_f64 v[14:15], v[14:15], -v[4:5]
	ds_read_b128 v[4:7], v40 offset:608
	v_mul_f64 v[24:25], v[32:33], -v[22:23]
	v_fmac_f64_e32 v[24:25], v[20:21], v[34:35]
	v_mul_f64 v[20:21], v[32:33], v[20:21]
	v_fmac_f64_e32 v[20:21], v[22:23], v[34:35]
	v_add_f64 v[14:15], v[14:15], -v[20:21]
	s_waitcnt lgkmcnt(1)
	v_mul_f64 v[20:21], v[28:29], v[18:19]
	v_fma_f64 v[20:21], -v[16:17], v[30:31], v[20:21]
	v_mul_f64 v[16:17], v[28:29], -v[16:17]
	v_fma_f64 v[22:23], -v[18:19], v[30:31], v[16:17]
	s_waitcnt lgkmcnt(0)
	v_mul_f64 v[16:17], v[32:33], v[6:7]
	v_fma_f64 v[16:17], -v[4:5], v[34:35], v[16:17]
	v_mul_f64 v[4:5], v[32:33], -v[4:5]
	v_cmp_gt_u32_e32 vcc, 8, v0
	v_add_f64 v[12:13], v[12:13], -v[24:25]
	v_fma_f64 v[18:19], -v[6:7], v[34:35], v[4:5]
	s_waitcnt lgkmcnt(0)
	; wave barrier
	ds_write_b128 v1, v[8:11] offset:272
	ds_write_b128 v1, v[12:15] offset:1088
	ds_write_b128 v1, v[20:23]
	ds_write_b128 v1, v[16:19] offset:544
	s_waitcnt lgkmcnt(0)
	; wave barrier
	s_waitcnt lgkmcnt(0)
	s_and_saveexec_b64 s[0:1], vcc
	s_cbranch_execz .LBB66_2
; %bb.1:
	v_add_u32_e32 v0, 0x110, v1
	ds_read_b128 v[4:7], v0 offset:128
	ds_read_b128 v[8:11], v0
	v_add_u32_e32 v0, 0x220, v1
	ds_read_b128 v[12:15], v1 offset:128
	ds_read_b128 v[16:19], v0
	v_add_u32_e32 v0, 0x440, v1
	s_waitcnt lgkmcnt(2)
	v_mul_f64 v[22:23], v[10:11], v[4:5]
	v_mul_f64 v[20:21], v[10:11], -v[6:7]
	s_waitcnt lgkmcnt(0)
	v_mul_f64 v[26:27], v[14:15], v[16:17]
	v_fmac_f64_e32 v[22:23], v[6:7], v[8:9]
	v_mul_f64 v[24:25], v[14:15], -v[18:19]
	v_fmac_f64_e32 v[26:27], v[18:19], v[12:13]
	v_fmac_f64_e32 v[20:21], v[4:5], v[8:9]
	;; [unrolled: 1-line block ×3, first 2 shown]
	v_add_f64 v[26:27], v[22:23], -v[26:27]
	v_add_f64 v[24:25], v[20:21], -v[24:25]
	v_mul_f64 v[20:21], v[26:27], v[26:27]
	v_fmac_f64_e32 v[20:21], v[24:25], v[24:25]
	v_div_scale_f64 v[22:23], s[2:3], v[20:21], v[20:21], 1.0
	v_rcp_f64_e32 v[28:29], v[22:23]
	v_fma_f64 v[30:31], -v[22:23], v[28:29], 1.0
	v_fmac_f64_e32 v[28:29], v[28:29], v[30:31]
	v_fma_f64 v[30:31], -v[22:23], v[28:29], 1.0
	v_fmac_f64_e32 v[28:29], v[28:29], v[30:31]
	v_div_scale_f64 v[30:31], vcc, 1.0, v[20:21], 1.0
	v_mul_f64 v[32:33], v[30:31], v[28:29]
	v_fma_f64 v[22:23], -v[22:23], v[32:33], v[30:31]
	v_fma_f64 v[30:31], 0, v[26:27], v[24:25]
	s_nop 0
	v_div_fmas_f64 v[22:23], v[22:23], v[28:29], v[32:33]
	v_div_fixup_f64 v[28:29], v[22:23], v[20:21], 1.0
	ds_read_b128 v[20:23], v0
	v_fma_f64 v[24:25], v[24:25], 0, -v[26:27]
	v_mul_f64 v[30:31], v[30:31], v[28:29]
	v_mul_f64 v[28:29], v[24:25], v[28:29]
	ds_read_b128 v[24:27], v0 offset:128
	s_waitcnt lgkmcnt(1)
	v_mul_f64 v[32:33], v[22:23], -v[6:7]
	v_fmac_f64_e32 v[32:33], v[4:5], v[20:21]
	v_mul_f64 v[4:5], v[4:5], v[22:23]
	v_fmac_f64_e32 v[4:5], v[6:7], v[20:21]
	s_waitcnt lgkmcnt(0)
	v_mul_f64 v[6:7], v[26:27], -v[18:19]
	v_fmac_f64_e32 v[6:7], v[16:17], v[24:25]
	v_mul_f64 v[16:17], v[16:17], v[26:27]
	v_fmac_f64_e32 v[16:17], v[18:19], v[24:25]
	v_add_f64 v[16:17], v[4:5], -v[16:17]
	v_add_f64 v[6:7], v[32:33], -v[6:7]
	v_mul_f64 v[4:5], v[28:29], -v[16:17]
	v_fmac_f64_e32 v[4:5], v[6:7], v[30:31]
	v_mul_f64 v[6:7], v[28:29], v[6:7]
	v_fmac_f64_e32 v[6:7], v[16:17], v[30:31]
	ds_write_b128 v1, v[4:7] offset:816
	v_mul_f64 v[4:5], v[10:11], -v[26:27]
	v_mul_f64 v[6:7], v[10:11], v[24:25]
	v_fmac_f64_e32 v[4:5], v[24:25], v[8:9]
	v_fmac_f64_e32 v[6:7], v[26:27], v[8:9]
	v_mul_f64 v[8:9], v[14:15], -v[22:23]
	v_mul_f64 v[10:11], v[14:15], v[20:21]
	v_fmac_f64_e32 v[8:9], v[20:21], v[12:13]
	v_fmac_f64_e32 v[10:11], v[22:23], v[12:13]
	v_add_f64 v[8:9], v[4:5], -v[8:9]
	v_add_f64 v[10:11], v[6:7], -v[10:11]
	v_mul_f64 v[4:5], v[28:29], -v[10:11]
	v_mul_f64 v[6:7], v[28:29], v[8:9]
	v_fmac_f64_e32 v[4:5], v[8:9], v[30:31]
	v_fmac_f64_e32 v[6:7], v[10:11], v[30:31]
	ds_write_b128 v1, v[4:7] offset:944
.LBB66_2:
	s_or_b64 exec, exec, s[0:1]
	s_waitcnt lgkmcnt(0)
	; wave barrier
	s_waitcnt lgkmcnt(0)
	ds_read2_b64 v[4:7], v1 offset0:102 offset1:103
	s_waitcnt lgkmcnt(0)
	global_store_dwordx4 v[2:3], v[4:7], off
	s_endpgm
	.section	.rodata,"a",@progbits
	.p2align	6, 0x0
	.amdhsa_kernel _ZN9rocsparseL49gtsv_nopivot_strided_batch_pcr_pow2_shared_kernelILj16E21rocsparse_complex_numIdEEEviiiPKT0_S5_S5_PS3_
		.amdhsa_group_segment_fixed_size 1360
		.amdhsa_private_segment_fixed_size 0
		.amdhsa_kernarg_size 48
		.amdhsa_user_sgpr_count 6
		.amdhsa_user_sgpr_private_segment_buffer 1
		.amdhsa_user_sgpr_dispatch_ptr 0
		.amdhsa_user_sgpr_queue_ptr 0
		.amdhsa_user_sgpr_kernarg_segment_ptr 1
		.amdhsa_user_sgpr_dispatch_id 0
		.amdhsa_user_sgpr_flat_scratch_init 0
		.amdhsa_user_sgpr_kernarg_preload_length 0
		.amdhsa_user_sgpr_kernarg_preload_offset 0
		.amdhsa_user_sgpr_private_segment_size 0
		.amdhsa_uses_dynamic_stack 0
		.amdhsa_system_sgpr_private_segment_wavefront_offset 0
		.amdhsa_system_sgpr_workgroup_id_x 1
		.amdhsa_system_sgpr_workgroup_id_y 0
		.amdhsa_system_sgpr_workgroup_id_z 0
		.amdhsa_system_sgpr_workgroup_info 0
		.amdhsa_system_vgpr_workitem_id 0
		.amdhsa_next_free_vgpr 57
		.amdhsa_next_free_sgpr 16
		.amdhsa_accum_offset 60
		.amdhsa_reserve_vcc 1
		.amdhsa_reserve_flat_scratch 0
		.amdhsa_float_round_mode_32 0
		.amdhsa_float_round_mode_16_64 0
		.amdhsa_float_denorm_mode_32 3
		.amdhsa_float_denorm_mode_16_64 3
		.amdhsa_dx10_clamp 1
		.amdhsa_ieee_mode 1
		.amdhsa_fp16_overflow 0
		.amdhsa_tg_split 0
		.amdhsa_exception_fp_ieee_invalid_op 0
		.amdhsa_exception_fp_denorm_src 0
		.amdhsa_exception_fp_ieee_div_zero 0
		.amdhsa_exception_fp_ieee_overflow 0
		.amdhsa_exception_fp_ieee_underflow 0
		.amdhsa_exception_fp_ieee_inexact 0
		.amdhsa_exception_int_div_zero 0
	.end_amdhsa_kernel
	.section	.text._ZN9rocsparseL49gtsv_nopivot_strided_batch_pcr_pow2_shared_kernelILj16E21rocsparse_complex_numIdEEEviiiPKT0_S5_S5_PS3_,"axG",@progbits,_ZN9rocsparseL49gtsv_nopivot_strided_batch_pcr_pow2_shared_kernelILj16E21rocsparse_complex_numIdEEEviiiPKT0_S5_S5_PS3_,comdat
.Lfunc_end66:
	.size	_ZN9rocsparseL49gtsv_nopivot_strided_batch_pcr_pow2_shared_kernelILj16E21rocsparse_complex_numIdEEEviiiPKT0_S5_S5_PS3_, .Lfunc_end66-_ZN9rocsparseL49gtsv_nopivot_strided_batch_pcr_pow2_shared_kernelILj16E21rocsparse_complex_numIdEEEviiiPKT0_S5_S5_PS3_
                                        ; -- End function
	.section	.AMDGPU.csdata,"",@progbits
; Kernel info:
; codeLenInByte = 2720
; NumSgprs: 20
; NumVgprs: 57
; NumAgprs: 0
; TotalNumVgprs: 57
; ScratchSize: 0
; MemoryBound: 0
; FloatMode: 240
; IeeeMode: 1
; LDSByteSize: 1360 bytes/workgroup (compile time only)
; SGPRBlocks: 2
; VGPRBlocks: 7
; NumSGPRsForWavesPerEU: 20
; NumVGPRsForWavesPerEU: 57
; AccumOffset: 60
; Occupancy: 8
; WaveLimiterHint : 0
; COMPUTE_PGM_RSRC2:SCRATCH_EN: 0
; COMPUTE_PGM_RSRC2:USER_SGPR: 6
; COMPUTE_PGM_RSRC2:TRAP_HANDLER: 0
; COMPUTE_PGM_RSRC2:TGID_X_EN: 1
; COMPUTE_PGM_RSRC2:TGID_Y_EN: 0
; COMPUTE_PGM_RSRC2:TGID_Z_EN: 0
; COMPUTE_PGM_RSRC2:TIDIG_COMP_CNT: 0
; COMPUTE_PGM_RSRC3_GFX90A:ACCUM_OFFSET: 14
; COMPUTE_PGM_RSRC3_GFX90A:TG_SPLIT: 0
	.section	.text._ZN9rocsparseL49gtsv_nopivot_strided_batch_pcr_pow2_shared_kernelILj32E21rocsparse_complex_numIdEEEviiiPKT0_S5_S5_PS3_,"axG",@progbits,_ZN9rocsparseL49gtsv_nopivot_strided_batch_pcr_pow2_shared_kernelILj32E21rocsparse_complex_numIdEEEviiiPKT0_S5_S5_PS3_,comdat
	.globl	_ZN9rocsparseL49gtsv_nopivot_strided_batch_pcr_pow2_shared_kernelILj32E21rocsparse_complex_numIdEEEviiiPKT0_S5_S5_PS3_ ; -- Begin function _ZN9rocsparseL49gtsv_nopivot_strided_batch_pcr_pow2_shared_kernelILj32E21rocsparse_complex_numIdEEEviiiPKT0_S5_S5_PS3_
	.p2align	8
	.type	_ZN9rocsparseL49gtsv_nopivot_strided_batch_pcr_pow2_shared_kernelILj32E21rocsparse_complex_numIdEEEviiiPKT0_S5_S5_PS3_,@function
_ZN9rocsparseL49gtsv_nopivot_strided_batch_pcr_pow2_shared_kernelILj32E21rocsparse_complex_numIdEEEviiiPKT0_S5_S5_PS3_: ; @_ZN9rocsparseL49gtsv_nopivot_strided_batch_pcr_pow2_shared_kernelILj32E21rocsparse_complex_numIdEEEviiiPKT0_S5_S5_PS3_
; %bb.0:
	s_load_dword s0, s[4:5], 0x8
	s_load_dwordx8 s[8:15], s[4:5], 0x10
	v_max_u32_e32 v22, 1, v0
	v_lshlrev_b32_e32 v38, 4, v22
	v_add_u32_e32 v42, -16, v38
	s_waitcnt lgkmcnt(0)
	s_mul_i32 s6, s6, s0
	v_add_u32_e32 v2, s6, v0
	v_ashrrev_i32_e32 v3, 31, v2
	v_lshlrev_b64 v[2:3], 4, v[2:3]
	v_mov_b32_e32 v1, s9
	v_add_co_u32_e32 v4, vcc, s8, v2
	v_addc_co_u32_e32 v5, vcc, v1, v3, vcc
	global_load_dwordx4 v[6:9], v[4:5], off
	v_mov_b32_e32 v1, s11
	v_add_co_u32_e32 v4, vcc, s10, v2
	v_addc_co_u32_e32 v5, vcc, v1, v3, vcc
	global_load_dwordx4 v[10:13], v[4:5], off
	v_mov_b32_e32 v1, s13
	v_add_co_u32_e32 v4, vcc, s12, v2
	v_addc_co_u32_e32 v5, vcc, v1, v3, vcc
	v_mov_b32_e32 v1, s15
	v_add_co_u32_e32 v2, vcc, s14, v2
	global_load_dwordx4 v[14:17], v[4:5], off
	v_addc_co_u32_e32 v3, vcc, v1, v3, vcc
	global_load_dwordx4 v[18:21], v[2:3], off
	v_lshlrev_b32_e32 v1, 4, v0
	v_min_u32_e32 v5, 30, v0
	v_add_u32_e32 v4, 0x840, v1
	v_lshlrev_b32_e32 v5, 4, v5
	s_waitcnt vmcnt(3)
	ds_write2_b64 v1, v[6:7], v[8:9] offset1:1
	s_waitcnt vmcnt(2)
	ds_write2_b64 v1, v[10:11], v[12:13] offset0:66 offset1:67
	s_waitcnt vmcnt(1)
	ds_write2_b64 v1, v[14:15], v[16:17] offset0:132 offset1:133
	s_waitcnt vmcnt(0)
	ds_write2_b64 v4, v[18:19], v[20:21] offset1:1
	s_waitcnt lgkmcnt(0)
	; wave barrier
	s_waitcnt lgkmcnt(0)
	ds_read_b128 v[6:9], v38 offset:512
	ds_read_b128 v[10:13], v38 offset:1040
	ds_read_b128 v[14:17], v1
	ds_read_b128 v[18:21], v1 offset:528
	ds_read_b128 v[22:25], v5 offset:544
	ds_read_b128 v[26:29], v5 offset:16
	ds_read_b128 v[30:33], v1 offset:1056
	ds_read_b128 v[34:37], v1 offset:2112
	ds_read_b128 v[38:41], v38 offset:2096
	ds_read_b128 v[42:45], v42
	s_waitcnt lgkmcnt(9)
	v_mul_f64 v[46:47], v[8:9], v[8:9]
	s_waitcnt lgkmcnt(7)
	v_mul_f64 v[48:49], v[8:9], v[16:17]
	v_mul_f64 v[8:9], v[8:9], -v[14:15]
	s_waitcnt lgkmcnt(5)
	v_mul_f64 v[50:51], v[24:25], v[24:25]
	v_fmac_f64_e32 v[46:47], v[6:7], v[6:7]
	s_waitcnt lgkmcnt(3)
	v_mul_f64 v[52:53], v[24:25], v[32:33]
	v_mul_f64 v[24:25], v[24:25], -v[30:31]
	v_fmac_f64_e32 v[48:49], v[14:15], v[6:7]
	v_fmac_f64_e32 v[8:9], v[16:17], v[6:7]
	;; [unrolled: 1-line block ×3, first 2 shown]
	v_div_scale_f64 v[6:7], s[0:1], v[46:47], v[46:47], 1.0
	v_fmac_f64_e32 v[52:53], v[30:31], v[22:23]
	v_fmac_f64_e32 v[24:25], v[32:33], v[22:23]
	v_div_scale_f64 v[16:17], s[0:1], v[50:51], v[50:51], 1.0
	v_rcp_f64_e32 v[22:23], v[6:7]
	v_rcp_f64_e32 v[30:31], v[16:17]
	v_div_scale_f64 v[14:15], vcc, 1.0, v[46:47], 1.0
	v_fma_f64 v[54:55], -v[6:7], v[22:23], 1.0
	v_fma_f64 v[56:57], -v[16:17], v[30:31], 1.0
	v_fmac_f64_e32 v[22:23], v[22:23], v[54:55]
	v_fmac_f64_e32 v[30:31], v[30:31], v[56:57]
	v_fma_f64 v[54:55], -v[6:7], v[22:23], 1.0
	v_fma_f64 v[56:57], -v[16:17], v[30:31], 1.0
	v_fmac_f64_e32 v[22:23], v[22:23], v[54:55]
	v_div_scale_f64 v[32:33], s[0:1], 1.0, v[50:51], 1.0
	v_fmac_f64_e32 v[30:31], v[30:31], v[56:57]
	v_mul_f64 v[54:55], v[14:15], v[22:23]
	v_mul_f64 v[56:57], v[32:33], v[30:31]
	v_fma_f64 v[6:7], -v[6:7], v[54:55], v[14:15]
	v_fma_f64 v[14:15], -v[16:17], v[56:57], v[32:33]
	v_div_fmas_f64 v[6:7], v[6:7], v[22:23], v[54:55]
	s_mov_b64 vcc, s[0:1]
	v_div_fixup_f64 v[6:7], v[6:7], v[46:47], 1.0
	v_div_fmas_f64 v[14:15], v[14:15], v[30:31], v[56:57]
	v_mul_f64 v[22:23], v[6:7], v[48:49]
	v_mul_f64 v[30:31], v[6:7], v[8:9]
	v_div_fixup_f64 v[6:7], v[14:15], v[50:51], 1.0
	v_mul_f64 v[32:33], v[6:7], v[52:53]
	v_mul_f64 v[24:25], v[6:7], v[24:25]
	v_mul_f64 v[6:7], v[30:31], -v[12:13]
	v_mul_f64 v[8:9], v[30:31], v[10:11]
	v_fmac_f64_e32 v[6:7], v[10:11], v[22:23]
	v_fmac_f64_e32 v[8:9], v[12:13], v[22:23]
	v_mul_f64 v[10:11], v[24:25], -v[28:29]
	v_mul_f64 v[12:13], v[24:25], v[26:27]
	v_add_f64 v[6:7], v[18:19], -v[6:7]
	v_add_f64 v[8:9], v[20:21], -v[8:9]
	v_fmac_f64_e32 v[10:11], v[26:27], v[32:33]
	v_fmac_f64_e32 v[12:13], v[28:29], v[32:33]
	v_add_f64 v[6:7], v[6:7], -v[10:11]
	v_add_f64 v[8:9], v[8:9], -v[12:13]
	ds_read_b128 v[10:13], v5 offset:2128
	s_waitcnt lgkmcnt(2)
	v_mul_f64 v[14:15], v[30:31], -v[40:41]
	v_mul_f64 v[16:17], v[30:31], v[38:39]
	v_fmac_f64_e32 v[14:15], v[38:39], v[22:23]
	v_fmac_f64_e32 v[16:17], v[40:41], v[22:23]
	v_add_f64 v[18:19], v[34:35], -v[14:15]
	v_add_f64 v[20:21], v[36:37], -v[16:17]
	ds_read_b128 v[14:17], v5 offset:1072
	s_waitcnt lgkmcnt(1)
	v_mul_f64 v[26:27], v[24:25], -v[12:13]
	v_mul_f64 v[28:29], v[24:25], v[10:11]
	v_fmac_f64_e32 v[26:27], v[10:11], v[32:33]
	v_fmac_f64_e32 v[28:29], v[12:13], v[32:33]
	v_add_f64 v[10:11], v[18:19], -v[26:27]
	v_add_f64 v[12:13], v[20:21], -v[28:29]
	v_mul_f64 v[18:19], v[30:31], v[44:45]
	v_mul_f64 v[20:21], v[30:31], -v[42:43]
	v_fma_f64 v[18:19], -v[42:43], v[22:23], v[18:19]
	v_fma_f64 v[20:21], -v[44:45], v[22:23], v[20:21]
	s_waitcnt lgkmcnt(0)
	v_mul_f64 v[22:23], v[24:25], v[16:17]
	v_max_u32_e32 v5, 2, v0
	v_fma_f64 v[22:23], -v[14:15], v[32:33], v[22:23]
	v_mul_f64 v[14:15], v[24:25], -v[14:15]
	v_lshlrev_b32_e32 v5, 4, v5
	v_fma_f64 v[24:25], -v[16:17], v[32:33], v[14:15]
	s_waitcnt lgkmcnt(0)
	; wave barrier
	ds_write_b128 v1, v[6:9] offset:528
	ds_write_b128 v1, v[10:13] offset:2112
	ds_write_b128 v1, v[18:21]
	ds_write_b128 v1, v[22:25] offset:1056
	s_waitcnt lgkmcnt(0)
	; wave barrier
	s_waitcnt lgkmcnt(0)
	ds_read_b128 v[6:9], v5 offset:496
	ds_read_b128 v[10:13], v5 offset:1024
	v_min_u32_e32 v24, 29, v0
	v_lshlrev_b32_e32 v41, 4, v24
	v_subrev_u32_e32 v40, 32, v5
	s_waitcnt lgkmcnt(1)
	v_mul_f64 v[18:19], v[8:9], v[8:9]
	v_fmac_f64_e32 v[18:19], v[6:7], v[6:7]
	v_div_scale_f64 v[14:15], s[0:1], v[18:19], v[18:19], 1.0
	v_rcp_f64_e32 v[16:17], v[14:15]
	v_fma_f64 v[20:21], -v[14:15], v[16:17], 1.0
	v_fmac_f64_e32 v[16:17], v[16:17], v[20:21]
	v_fma_f64 v[20:21], -v[14:15], v[16:17], 1.0
	v_fmac_f64_e32 v[16:17], v[16:17], v[20:21]
	v_div_scale_f64 v[20:21], vcc, 1.0, v[18:19], 1.0
	v_mul_f64 v[22:23], v[20:21], v[16:17]
	v_fma_f64 v[14:15], -v[14:15], v[22:23], v[20:21]
	s_nop 1
	v_div_fmas_f64 v[20:21], v[14:15], v[16:17], v[22:23]
	ds_read_b128 v[14:17], v1
	v_div_fixup_f64 v[30:31], v[20:21], v[18:19], 1.0
	ds_read_b128 v[18:21], v1 offset:528
	ds_read_b128 v[22:25], v41 offset:560
	s_waitcnt lgkmcnt(2)
	v_mul_f64 v[26:27], v[8:9], v[16:17]
	v_mul_f64 v[8:9], v[8:9], -v[14:15]
	s_waitcnt lgkmcnt(0)
	v_mul_f64 v[34:35], v[24:25], v[24:25]
	v_fmac_f64_e32 v[34:35], v[22:23], v[22:23]
	v_div_scale_f64 v[36:37], s[0:1], v[34:35], v[34:35], 1.0
	v_rcp_f64_e32 v[38:39], v[36:37]
	v_fmac_f64_e32 v[26:27], v[14:15], v[6:7]
	v_fmac_f64_e32 v[8:9], v[16:17], v[6:7]
	v_mul_f64 v[32:33], v[30:31], v[26:27]
	v_fma_f64 v[6:7], -v[36:37], v[38:39], 1.0
	v_fmac_f64_e32 v[38:39], v[38:39], v[6:7]
	v_fma_f64 v[6:7], -v[36:37], v[38:39], 1.0
	v_fmac_f64_e32 v[38:39], v[38:39], v[6:7]
	v_div_scale_f64 v[6:7], vcc, 1.0, v[34:35], 1.0
	v_mul_f64 v[14:15], v[6:7], v[38:39]
	v_mul_f64 v[30:31], v[30:31], v[8:9]
	v_fma_f64 v[16:17], -v[36:37], v[14:15], v[6:7]
	ds_read_b128 v[6:9], v1 offset:1056
	v_div_fmas_f64 v[14:15], v[16:17], v[38:39], v[14:15]
	v_div_fixup_f64 v[34:35], v[14:15], v[34:35], 1.0
	ds_read_b128 v[14:17], v1 offset:2112
	ds_read_b128 v[26:29], v41 offset:32
	s_waitcnt lgkmcnt(2)
	v_mul_f64 v[36:37], v[24:25], v[8:9]
	v_fmac_f64_e32 v[36:37], v[6:7], v[22:23]
	v_mul_f64 v[6:7], v[24:25], -v[6:7]
	v_fmac_f64_e32 v[6:7], v[8:9], v[22:23]
	ds_read_b128 v[22:25], v41 offset:2144
	v_mul_f64 v[36:37], v[34:35], v[36:37]
	v_mul_f64 v[34:35], v[34:35], v[6:7]
	v_mul_f64 v[6:7], v[30:31], -v[12:13]
	v_mul_f64 v[8:9], v[30:31], v[10:11]
	v_fmac_f64_e32 v[6:7], v[10:11], v[32:33]
	v_fmac_f64_e32 v[8:9], v[12:13], v[32:33]
	v_add_f64 v[10:11], v[18:19], -v[6:7]
	v_add_f64 v[12:13], v[20:21], -v[8:9]
	ds_read_b128 v[6:9], v5 offset:2080
	s_waitcnt lgkmcnt(2)
	v_mul_f64 v[18:19], v[34:35], -v[28:29]
	v_mul_f64 v[20:21], v[34:35], v[26:27]
	v_fmac_f64_e32 v[18:19], v[26:27], v[36:37]
	v_fmac_f64_e32 v[20:21], v[28:29], v[36:37]
	v_add_f64 v[10:11], v[10:11], -v[18:19]
	v_add_f64 v[12:13], v[12:13], -v[20:21]
	ds_read_b128 v[18:21], v40
	s_waitcnt lgkmcnt(1)
	v_mul_f64 v[26:27], v[30:31], -v[8:9]
	v_fmac_f64_e32 v[26:27], v[6:7], v[32:33]
	v_mul_f64 v[6:7], v[30:31], v[6:7]
	v_fmac_f64_e32 v[6:7], v[8:9], v[32:33]
	v_add_f64 v[14:15], v[14:15], -v[26:27]
	v_add_f64 v[16:17], v[16:17], -v[6:7]
	ds_read_b128 v[6:9], v41 offset:1088
	v_mul_f64 v[26:27], v[34:35], -v[24:25]
	v_fmac_f64_e32 v[26:27], v[22:23], v[36:37]
	v_mul_f64 v[22:23], v[34:35], v[22:23]
	v_fmac_f64_e32 v[22:23], v[24:25], v[36:37]
	v_add_f64 v[16:17], v[16:17], -v[22:23]
	s_waitcnt lgkmcnt(1)
	v_mul_f64 v[22:23], v[30:31], v[20:21]
	v_fma_f64 v[22:23], -v[18:19], v[32:33], v[22:23]
	v_mul_f64 v[18:19], v[30:31], -v[18:19]
	v_fma_f64 v[24:25], -v[20:21], v[32:33], v[18:19]
	s_waitcnt lgkmcnt(0)
	v_mul_f64 v[18:19], v[34:35], v[8:9]
	v_max_u32_e32 v5, 4, v0
	v_fma_f64 v[18:19], -v[6:7], v[36:37], v[18:19]
	v_mul_f64 v[6:7], v[34:35], -v[6:7]
	v_lshlrev_b32_e32 v5, 4, v5
	v_add_f64 v[14:15], v[14:15], -v[26:27]
	v_fma_f64 v[20:21], -v[8:9], v[36:37], v[6:7]
	s_waitcnt lgkmcnt(0)
	; wave barrier
	ds_write_b128 v1, v[10:13] offset:528
	ds_write_b128 v1, v[14:17] offset:2112
	ds_write_b128 v1, v[22:25]
	ds_write_b128 v1, v[18:21] offset:1056
	s_waitcnt lgkmcnt(0)
	; wave barrier
	s_waitcnt lgkmcnt(0)
	ds_read_b128 v[6:9], v5 offset:464
	ds_read_b128 v[10:13], v5 offset:992
	v_min_u32_e32 v24, 27, v0
	v_lshlrev_b32_e32 v41, 4, v24
	v_subrev_u32_e32 v40, 64, v5
	s_waitcnt lgkmcnt(1)
	v_mul_f64 v[18:19], v[8:9], v[8:9]
	v_fmac_f64_e32 v[18:19], v[6:7], v[6:7]
	v_div_scale_f64 v[14:15], s[0:1], v[18:19], v[18:19], 1.0
	v_rcp_f64_e32 v[16:17], v[14:15]
	v_fma_f64 v[20:21], -v[14:15], v[16:17], 1.0
	v_fmac_f64_e32 v[16:17], v[16:17], v[20:21]
	v_fma_f64 v[20:21], -v[14:15], v[16:17], 1.0
	v_fmac_f64_e32 v[16:17], v[16:17], v[20:21]
	v_div_scale_f64 v[20:21], vcc, 1.0, v[18:19], 1.0
	v_mul_f64 v[22:23], v[20:21], v[16:17]
	v_fma_f64 v[14:15], -v[14:15], v[22:23], v[20:21]
	s_nop 1
	v_div_fmas_f64 v[20:21], v[14:15], v[16:17], v[22:23]
	ds_read_b128 v[14:17], v1
	v_div_fixup_f64 v[30:31], v[20:21], v[18:19], 1.0
	ds_read_b128 v[18:21], v1 offset:528
	ds_read_b128 v[22:25], v41 offset:592
	s_waitcnt lgkmcnt(2)
	v_mul_f64 v[26:27], v[8:9], v[16:17]
	v_mul_f64 v[8:9], v[8:9], -v[14:15]
	s_waitcnt lgkmcnt(0)
	v_mul_f64 v[34:35], v[24:25], v[24:25]
	v_fmac_f64_e32 v[34:35], v[22:23], v[22:23]
	v_div_scale_f64 v[36:37], s[0:1], v[34:35], v[34:35], 1.0
	v_rcp_f64_e32 v[38:39], v[36:37]
	v_fmac_f64_e32 v[26:27], v[14:15], v[6:7]
	v_fmac_f64_e32 v[8:9], v[16:17], v[6:7]
	v_mul_f64 v[32:33], v[30:31], v[26:27]
	v_fma_f64 v[6:7], -v[36:37], v[38:39], 1.0
	v_fmac_f64_e32 v[38:39], v[38:39], v[6:7]
	v_fma_f64 v[6:7], -v[36:37], v[38:39], 1.0
	v_fmac_f64_e32 v[38:39], v[38:39], v[6:7]
	v_div_scale_f64 v[6:7], vcc, 1.0, v[34:35], 1.0
	v_mul_f64 v[14:15], v[6:7], v[38:39]
	v_mul_f64 v[30:31], v[30:31], v[8:9]
	v_fma_f64 v[16:17], -v[36:37], v[14:15], v[6:7]
	ds_read_b128 v[6:9], v1 offset:1056
	v_div_fmas_f64 v[14:15], v[16:17], v[38:39], v[14:15]
	v_div_fixup_f64 v[34:35], v[14:15], v[34:35], 1.0
	ds_read_b128 v[14:17], v1 offset:2112
	ds_read_b128 v[26:29], v41 offset:64
	s_waitcnt lgkmcnt(2)
	v_mul_f64 v[36:37], v[24:25], v[8:9]
	v_fmac_f64_e32 v[36:37], v[6:7], v[22:23]
	v_mul_f64 v[6:7], v[24:25], -v[6:7]
	v_fmac_f64_e32 v[6:7], v[8:9], v[22:23]
	ds_read_b128 v[22:25], v41 offset:2176
	v_mul_f64 v[36:37], v[34:35], v[36:37]
	v_mul_f64 v[34:35], v[34:35], v[6:7]
	v_mul_f64 v[6:7], v[30:31], -v[12:13]
	v_mul_f64 v[8:9], v[30:31], v[10:11]
	v_fmac_f64_e32 v[6:7], v[10:11], v[32:33]
	v_fmac_f64_e32 v[8:9], v[12:13], v[32:33]
	v_add_f64 v[10:11], v[18:19], -v[6:7]
	v_add_f64 v[12:13], v[20:21], -v[8:9]
	ds_read_b128 v[6:9], v5 offset:2048
	s_waitcnt lgkmcnt(2)
	v_mul_f64 v[18:19], v[34:35], -v[28:29]
	v_mul_f64 v[20:21], v[34:35], v[26:27]
	v_fmac_f64_e32 v[18:19], v[26:27], v[36:37]
	v_fmac_f64_e32 v[20:21], v[28:29], v[36:37]
	v_add_f64 v[10:11], v[10:11], -v[18:19]
	v_add_f64 v[12:13], v[12:13], -v[20:21]
	ds_read_b128 v[18:21], v40
	s_waitcnt lgkmcnt(1)
	v_mul_f64 v[26:27], v[30:31], -v[8:9]
	v_fmac_f64_e32 v[26:27], v[6:7], v[32:33]
	v_mul_f64 v[6:7], v[30:31], v[6:7]
	v_fmac_f64_e32 v[6:7], v[8:9], v[32:33]
	v_add_f64 v[14:15], v[14:15], -v[26:27]
	v_add_f64 v[16:17], v[16:17], -v[6:7]
	ds_read_b128 v[6:9], v41 offset:1120
	v_mul_f64 v[26:27], v[34:35], -v[24:25]
	v_fmac_f64_e32 v[26:27], v[22:23], v[36:37]
	v_mul_f64 v[22:23], v[34:35], v[22:23]
	v_fmac_f64_e32 v[22:23], v[24:25], v[36:37]
	v_add_f64 v[16:17], v[16:17], -v[22:23]
	s_waitcnt lgkmcnt(1)
	v_mul_f64 v[22:23], v[30:31], v[20:21]
	v_fma_f64 v[22:23], -v[18:19], v[32:33], v[22:23]
	v_mul_f64 v[18:19], v[30:31], -v[18:19]
	v_fma_f64 v[24:25], -v[20:21], v[32:33], v[18:19]
	s_waitcnt lgkmcnt(0)
	v_mul_f64 v[18:19], v[34:35], v[8:9]
	v_max_u32_e32 v5, 8, v0
	v_fma_f64 v[18:19], -v[6:7], v[36:37], v[18:19]
	v_mul_f64 v[6:7], v[34:35], -v[6:7]
	v_lshlrev_b32_e32 v5, 4, v5
	v_add_f64 v[14:15], v[14:15], -v[26:27]
	v_fma_f64 v[20:21], -v[8:9], v[36:37], v[6:7]
	s_waitcnt lgkmcnt(0)
	; wave barrier
	ds_write_b128 v1, v[10:13] offset:528
	ds_write_b128 v1, v[14:17] offset:2112
	ds_write_b128 v1, v[22:25]
	ds_write_b128 v1, v[18:21] offset:1056
	s_waitcnt lgkmcnt(0)
	; wave barrier
	s_waitcnt lgkmcnt(0)
	ds_read_b128 v[6:9], v5 offset:400
	ds_read_b128 v[10:13], v5 offset:928
	v_min_u32_e32 v24, 23, v0
	v_lshlrev_b32_e32 v41, 4, v24
	v_add_u32_e32 v40, 0xffffff80, v5
	s_waitcnt lgkmcnt(1)
	v_mul_f64 v[18:19], v[8:9], v[8:9]
	v_fmac_f64_e32 v[18:19], v[6:7], v[6:7]
	v_div_scale_f64 v[14:15], s[0:1], v[18:19], v[18:19], 1.0
	v_rcp_f64_e32 v[16:17], v[14:15]
	v_fma_f64 v[20:21], -v[14:15], v[16:17], 1.0
	v_fmac_f64_e32 v[16:17], v[16:17], v[20:21]
	v_fma_f64 v[20:21], -v[14:15], v[16:17], 1.0
	v_fmac_f64_e32 v[16:17], v[16:17], v[20:21]
	v_div_scale_f64 v[20:21], vcc, 1.0, v[18:19], 1.0
	v_mul_f64 v[22:23], v[20:21], v[16:17]
	v_fma_f64 v[14:15], -v[14:15], v[22:23], v[20:21]
	s_nop 1
	v_div_fmas_f64 v[20:21], v[14:15], v[16:17], v[22:23]
	ds_read_b128 v[14:17], v1
	v_div_fixup_f64 v[30:31], v[20:21], v[18:19], 1.0
	ds_read_b128 v[18:21], v1 offset:528
	ds_read_b128 v[22:25], v41 offset:656
	s_waitcnt lgkmcnt(2)
	v_mul_f64 v[26:27], v[8:9], v[16:17]
	v_mul_f64 v[8:9], v[8:9], -v[14:15]
	s_waitcnt lgkmcnt(0)
	v_mul_f64 v[34:35], v[24:25], v[24:25]
	v_fmac_f64_e32 v[34:35], v[22:23], v[22:23]
	v_div_scale_f64 v[36:37], s[0:1], v[34:35], v[34:35], 1.0
	v_rcp_f64_e32 v[38:39], v[36:37]
	v_fmac_f64_e32 v[26:27], v[14:15], v[6:7]
	v_fmac_f64_e32 v[8:9], v[16:17], v[6:7]
	v_mul_f64 v[32:33], v[30:31], v[26:27]
	v_fma_f64 v[6:7], -v[36:37], v[38:39], 1.0
	v_fmac_f64_e32 v[38:39], v[38:39], v[6:7]
	v_fma_f64 v[6:7], -v[36:37], v[38:39], 1.0
	v_fmac_f64_e32 v[38:39], v[38:39], v[6:7]
	v_div_scale_f64 v[6:7], vcc, 1.0, v[34:35], 1.0
	v_mul_f64 v[14:15], v[6:7], v[38:39]
	v_mul_f64 v[30:31], v[30:31], v[8:9]
	v_fma_f64 v[16:17], -v[36:37], v[14:15], v[6:7]
	ds_read_b128 v[6:9], v1 offset:1056
	v_div_fmas_f64 v[14:15], v[16:17], v[38:39], v[14:15]
	v_div_fixup_f64 v[34:35], v[14:15], v[34:35], 1.0
	ds_read_b128 v[14:17], v1 offset:2112
	ds_read_b128 v[26:29], v41 offset:128
	s_waitcnt lgkmcnt(2)
	v_mul_f64 v[36:37], v[24:25], v[8:9]
	v_fmac_f64_e32 v[36:37], v[6:7], v[22:23]
	v_mul_f64 v[6:7], v[24:25], -v[6:7]
	v_fmac_f64_e32 v[6:7], v[8:9], v[22:23]
	ds_read_b128 v[22:25], v41 offset:2240
	v_mul_f64 v[36:37], v[34:35], v[36:37]
	v_mul_f64 v[34:35], v[34:35], v[6:7]
	v_mul_f64 v[6:7], v[30:31], -v[12:13]
	v_mul_f64 v[8:9], v[30:31], v[10:11]
	v_fmac_f64_e32 v[6:7], v[10:11], v[32:33]
	v_fmac_f64_e32 v[8:9], v[12:13], v[32:33]
	v_add_f64 v[10:11], v[18:19], -v[6:7]
	v_add_f64 v[12:13], v[20:21], -v[8:9]
	ds_read_b128 v[6:9], v5 offset:1984
	s_waitcnt lgkmcnt(2)
	v_mul_f64 v[18:19], v[34:35], -v[28:29]
	v_mul_f64 v[20:21], v[34:35], v[26:27]
	v_fmac_f64_e32 v[18:19], v[26:27], v[36:37]
	v_fmac_f64_e32 v[20:21], v[28:29], v[36:37]
	v_add_f64 v[10:11], v[10:11], -v[18:19]
	v_add_f64 v[12:13], v[12:13], -v[20:21]
	ds_read_b128 v[18:21], v40
	s_waitcnt lgkmcnt(1)
	v_mul_f64 v[26:27], v[30:31], -v[8:9]
	v_fmac_f64_e32 v[26:27], v[6:7], v[32:33]
	v_mul_f64 v[6:7], v[30:31], v[6:7]
	v_fmac_f64_e32 v[6:7], v[8:9], v[32:33]
	v_add_f64 v[14:15], v[14:15], -v[26:27]
	v_add_f64 v[16:17], v[16:17], -v[6:7]
	ds_read_b128 v[6:9], v41 offset:1184
	v_mul_f64 v[26:27], v[34:35], -v[24:25]
	v_fmac_f64_e32 v[26:27], v[22:23], v[36:37]
	v_mul_f64 v[22:23], v[34:35], v[22:23]
	v_fmac_f64_e32 v[22:23], v[24:25], v[36:37]
	v_add_f64 v[16:17], v[16:17], -v[22:23]
	s_waitcnt lgkmcnt(1)
	v_mul_f64 v[22:23], v[30:31], v[20:21]
	v_fma_f64 v[22:23], -v[18:19], v[32:33], v[22:23]
	v_mul_f64 v[18:19], v[30:31], -v[18:19]
	v_fma_f64 v[24:25], -v[20:21], v[32:33], v[18:19]
	s_waitcnt lgkmcnt(0)
	v_mul_f64 v[18:19], v[34:35], v[8:9]
	v_fma_f64 v[18:19], -v[6:7], v[36:37], v[18:19]
	v_mul_f64 v[6:7], v[34:35], -v[6:7]
	v_cmp_gt_u32_e32 vcc, 16, v0
	v_add_f64 v[14:15], v[14:15], -v[26:27]
	v_fma_f64 v[20:21], -v[8:9], v[36:37], v[6:7]
	s_waitcnt lgkmcnt(0)
	; wave barrier
	ds_write_b128 v1, v[10:13] offset:528
	ds_write_b128 v1, v[14:17] offset:2112
	ds_write_b128 v1, v[22:25]
	ds_write_b128 v1, v[18:21] offset:1056
	s_waitcnt lgkmcnt(0)
	; wave barrier
	s_waitcnt lgkmcnt(0)
	s_and_saveexec_b64 s[0:1], vcc
	s_cbranch_execz .LBB67_2
; %bb.1:
	v_add_u32_e32 v0, 0x210, v1
	ds_read_b128 v[6:9], v0 offset:256
	ds_read_b128 v[10:13], v0
	v_add_u32_e32 v0, 0x420, v1
	ds_read_b128 v[14:17], v1 offset:256
	ds_read_b128 v[18:21], v0
	s_waitcnt lgkmcnt(2)
	v_mul_f64 v[24:25], v[12:13], v[6:7]
	v_mul_f64 v[22:23], v[12:13], -v[8:9]
	s_waitcnt lgkmcnt(0)
	v_mul_f64 v[28:29], v[16:17], v[18:19]
	v_fmac_f64_e32 v[24:25], v[8:9], v[10:11]
	v_mul_f64 v[26:27], v[16:17], -v[20:21]
	v_fmac_f64_e32 v[28:29], v[20:21], v[14:15]
	v_fmac_f64_e32 v[22:23], v[6:7], v[10:11]
	;; [unrolled: 1-line block ×3, first 2 shown]
	v_add_f64 v[28:29], v[24:25], -v[28:29]
	v_add_f64 v[26:27], v[22:23], -v[26:27]
	v_mul_f64 v[22:23], v[28:29], v[28:29]
	v_fmac_f64_e32 v[22:23], v[26:27], v[26:27]
	v_div_scale_f64 v[24:25], s[2:3], v[22:23], v[22:23], 1.0
	v_rcp_f64_e32 v[30:31], v[24:25]
	v_fma_f64 v[32:33], -v[24:25], v[30:31], 1.0
	v_fmac_f64_e32 v[30:31], v[30:31], v[32:33]
	v_fma_f64 v[32:33], -v[24:25], v[30:31], 1.0
	v_fmac_f64_e32 v[30:31], v[30:31], v[32:33]
	v_div_scale_f64 v[32:33], vcc, 1.0, v[22:23], 1.0
	v_mul_f64 v[34:35], v[32:33], v[30:31]
	v_fma_f64 v[24:25], -v[24:25], v[34:35], v[32:33]
	v_fma_f64 v[32:33], 0, v[28:29], v[26:27]
	s_nop 0
	v_div_fmas_f64 v[24:25], v[24:25], v[30:31], v[34:35]
	v_div_fixup_f64 v[30:31], v[24:25], v[22:23], 1.0
	ds_read_b128 v[22:25], v4
	v_fma_f64 v[26:27], v[26:27], 0, -v[28:29]
	v_mul_f64 v[32:33], v[32:33], v[30:31]
	v_mul_f64 v[30:31], v[26:27], v[30:31]
	ds_read_b128 v[26:29], v4 offset:256
	s_waitcnt lgkmcnt(1)
	v_mul_f64 v[4:5], v[24:25], -v[8:9]
	v_fmac_f64_e32 v[4:5], v[6:7], v[22:23]
	v_mul_f64 v[6:7], v[6:7], v[24:25]
	v_fmac_f64_e32 v[6:7], v[8:9], v[22:23]
	s_waitcnt lgkmcnt(0)
	v_mul_f64 v[8:9], v[28:29], -v[20:21]
	v_fmac_f64_e32 v[8:9], v[18:19], v[26:27]
	v_mul_f64 v[18:19], v[18:19], v[28:29]
	v_fmac_f64_e32 v[18:19], v[20:21], v[26:27]
	v_add_f64 v[8:9], v[4:5], -v[8:9]
	v_add_f64 v[18:19], v[6:7], -v[18:19]
	v_mul_f64 v[4:5], v[30:31], -v[18:19]
	v_mul_f64 v[6:7], v[30:31], v[8:9]
	v_fmac_f64_e32 v[4:5], v[8:9], v[32:33]
	v_fmac_f64_e32 v[6:7], v[18:19], v[32:33]
	ds_write_b128 v1, v[4:7] offset:1584
	v_mul_f64 v[4:5], v[12:13], -v[28:29]
	v_mul_f64 v[6:7], v[12:13], v[26:27]
	v_fmac_f64_e32 v[4:5], v[26:27], v[10:11]
	v_fmac_f64_e32 v[6:7], v[28:29], v[10:11]
	v_mul_f64 v[8:9], v[16:17], -v[24:25]
	v_mul_f64 v[10:11], v[16:17], v[22:23]
	v_fmac_f64_e32 v[8:9], v[22:23], v[14:15]
	v_fmac_f64_e32 v[10:11], v[24:25], v[14:15]
	v_add_f64 v[8:9], v[4:5], -v[8:9]
	v_add_f64 v[10:11], v[6:7], -v[10:11]
	v_mul_f64 v[4:5], v[30:31], -v[10:11]
	v_mul_f64 v[6:7], v[30:31], v[8:9]
	v_fmac_f64_e32 v[4:5], v[8:9], v[32:33]
	v_fmac_f64_e32 v[6:7], v[10:11], v[32:33]
	ds_write_b128 v1, v[4:7] offset:1840
.LBB67_2:
	s_or_b64 exec, exec, s[0:1]
	s_waitcnt lgkmcnt(0)
	; wave barrier
	s_waitcnt lgkmcnt(0)
	ds_read2_b64 v[4:7], v1 offset0:198 offset1:199
	s_waitcnt lgkmcnt(0)
	global_store_dwordx4 v[2:3], v[4:7], off
	s_endpgm
	.section	.rodata,"a",@progbits
	.p2align	6, 0x0
	.amdhsa_kernel _ZN9rocsparseL49gtsv_nopivot_strided_batch_pcr_pow2_shared_kernelILj32E21rocsparse_complex_numIdEEEviiiPKT0_S5_S5_PS3_
		.amdhsa_group_segment_fixed_size 2640
		.amdhsa_private_segment_fixed_size 0
		.amdhsa_kernarg_size 48
		.amdhsa_user_sgpr_count 6
		.amdhsa_user_sgpr_private_segment_buffer 1
		.amdhsa_user_sgpr_dispatch_ptr 0
		.amdhsa_user_sgpr_queue_ptr 0
		.amdhsa_user_sgpr_kernarg_segment_ptr 1
		.amdhsa_user_sgpr_dispatch_id 0
		.amdhsa_user_sgpr_flat_scratch_init 0
		.amdhsa_user_sgpr_kernarg_preload_length 0
		.amdhsa_user_sgpr_kernarg_preload_offset 0
		.amdhsa_user_sgpr_private_segment_size 0
		.amdhsa_uses_dynamic_stack 0
		.amdhsa_system_sgpr_private_segment_wavefront_offset 0
		.amdhsa_system_sgpr_workgroup_id_x 1
		.amdhsa_system_sgpr_workgroup_id_y 0
		.amdhsa_system_sgpr_workgroup_id_z 0
		.amdhsa_system_sgpr_workgroup_info 0
		.amdhsa_system_vgpr_workitem_id 0
		.amdhsa_next_free_vgpr 58
		.amdhsa_next_free_sgpr 16
		.amdhsa_accum_offset 60
		.amdhsa_reserve_vcc 1
		.amdhsa_reserve_flat_scratch 0
		.amdhsa_float_round_mode_32 0
		.amdhsa_float_round_mode_16_64 0
		.amdhsa_float_denorm_mode_32 3
		.amdhsa_float_denorm_mode_16_64 3
		.amdhsa_dx10_clamp 1
		.amdhsa_ieee_mode 1
		.amdhsa_fp16_overflow 0
		.amdhsa_tg_split 0
		.amdhsa_exception_fp_ieee_invalid_op 0
		.amdhsa_exception_fp_denorm_src 0
		.amdhsa_exception_fp_ieee_div_zero 0
		.amdhsa_exception_fp_ieee_overflow 0
		.amdhsa_exception_fp_ieee_underflow 0
		.amdhsa_exception_fp_ieee_inexact 0
		.amdhsa_exception_int_div_zero 0
	.end_amdhsa_kernel
	.section	.text._ZN9rocsparseL49gtsv_nopivot_strided_batch_pcr_pow2_shared_kernelILj32E21rocsparse_complex_numIdEEEviiiPKT0_S5_S5_PS3_,"axG",@progbits,_ZN9rocsparseL49gtsv_nopivot_strided_batch_pcr_pow2_shared_kernelILj32E21rocsparse_complex_numIdEEEviiiPKT0_S5_S5_PS3_,comdat
.Lfunc_end67:
	.size	_ZN9rocsparseL49gtsv_nopivot_strided_batch_pcr_pow2_shared_kernelILj32E21rocsparse_complex_numIdEEEviiiPKT0_S5_S5_PS3_, .Lfunc_end67-_ZN9rocsparseL49gtsv_nopivot_strided_batch_pcr_pow2_shared_kernelILj32E21rocsparse_complex_numIdEEEviiiPKT0_S5_S5_PS3_
                                        ; -- End function
	.section	.AMDGPU.csdata,"",@progbits
; Kernel info:
; codeLenInByte = 3400
; NumSgprs: 20
; NumVgprs: 58
; NumAgprs: 0
; TotalNumVgprs: 58
; ScratchSize: 0
; MemoryBound: 0
; FloatMode: 240
; IeeeMode: 1
; LDSByteSize: 2640 bytes/workgroup (compile time only)
; SGPRBlocks: 2
; VGPRBlocks: 7
; NumSGPRsForWavesPerEU: 20
; NumVGPRsForWavesPerEU: 58
; AccumOffset: 60
; Occupancy: 6
; WaveLimiterHint : 0
; COMPUTE_PGM_RSRC2:SCRATCH_EN: 0
; COMPUTE_PGM_RSRC2:USER_SGPR: 6
; COMPUTE_PGM_RSRC2:TRAP_HANDLER: 0
; COMPUTE_PGM_RSRC2:TGID_X_EN: 1
; COMPUTE_PGM_RSRC2:TGID_Y_EN: 0
; COMPUTE_PGM_RSRC2:TGID_Z_EN: 0
; COMPUTE_PGM_RSRC2:TIDIG_COMP_CNT: 0
; COMPUTE_PGM_RSRC3_GFX90A:ACCUM_OFFSET: 14
; COMPUTE_PGM_RSRC3_GFX90A:TG_SPLIT: 0
	.section	.text._ZN9rocsparseL49gtsv_nopivot_strided_batch_pcr_pow2_shared_kernelILj64E21rocsparse_complex_numIdEEEviiiPKT0_S5_S5_PS3_,"axG",@progbits,_ZN9rocsparseL49gtsv_nopivot_strided_batch_pcr_pow2_shared_kernelILj64E21rocsparse_complex_numIdEEEviiiPKT0_S5_S5_PS3_,comdat
	.globl	_ZN9rocsparseL49gtsv_nopivot_strided_batch_pcr_pow2_shared_kernelILj64E21rocsparse_complex_numIdEEEviiiPKT0_S5_S5_PS3_ ; -- Begin function _ZN9rocsparseL49gtsv_nopivot_strided_batch_pcr_pow2_shared_kernelILj64E21rocsparse_complex_numIdEEEviiiPKT0_S5_S5_PS3_
	.p2align	8
	.type	_ZN9rocsparseL49gtsv_nopivot_strided_batch_pcr_pow2_shared_kernelILj64E21rocsparse_complex_numIdEEEviiiPKT0_S5_S5_PS3_,@function
_ZN9rocsparseL49gtsv_nopivot_strided_batch_pcr_pow2_shared_kernelILj64E21rocsparse_complex_numIdEEEviiiPKT0_S5_S5_PS3_: ; @_ZN9rocsparseL49gtsv_nopivot_strided_batch_pcr_pow2_shared_kernelILj64E21rocsparse_complex_numIdEEEviiiPKT0_S5_S5_PS3_
; %bb.0:
	s_load_dword s0, s[4:5], 0x8
	s_load_dwordx8 s[8:15], s[4:5], 0x10
	v_max_u32_e32 v23, 1, v0
	v_lshlrev_b32_e32 v38, 4, v23
	v_min_u32_e32 v22, 62, v0
	s_waitcnt lgkmcnt(0)
	s_mul_i32 s6, s6, s0
	v_add_u32_e32 v2, s6, v0
	v_ashrrev_i32_e32 v3, 31, v2
	v_lshlrev_b64 v[2:3], 4, v[2:3]
	v_mov_b32_e32 v1, s9
	v_add_co_u32_e32 v4, vcc, s8, v2
	v_addc_co_u32_e32 v5, vcc, v1, v3, vcc
	global_load_dwordx4 v[6:9], v[4:5], off
	v_mov_b32_e32 v1, s11
	v_add_co_u32_e32 v4, vcc, s10, v2
	v_addc_co_u32_e32 v5, vcc, v1, v3, vcc
	global_load_dwordx4 v[10:13], v[4:5], off
	v_mov_b32_e32 v1, s13
	v_add_co_u32_e32 v4, vcc, s12, v2
	v_addc_co_u32_e32 v5, vcc, v1, v3, vcc
	v_mov_b32_e32 v1, s15
	v_add_co_u32_e32 v2, vcc, s14, v2
	global_load_dwordx4 v[14:17], v[4:5], off
	v_addc_co_u32_e32 v3, vcc, v1, v3, vcc
	global_load_dwordx4 v[18:21], v[2:3], off
	v_lshlrev_b32_e32 v1, 4, v0
	v_add_u32_e32 v42, -16, v38
	v_add_u32_e32 v5, 0x820, v1
	v_add_u32_e32 v4, 0x1040, v1
	v_lshlrev_b32_e32 v58, 4, v22
	s_waitcnt vmcnt(3)
	ds_write2_b64 v1, v[6:7], v[8:9] offset1:1
	s_waitcnt vmcnt(2)
	ds_write2_b64 v1, v[10:11], v[12:13] offset0:130 offset1:131
	s_waitcnt vmcnt(1)
	ds_write2_b64 v5, v[14:15], v[16:17] offset1:1
	s_waitcnt vmcnt(0)
	ds_write2_b64 v4, v[18:19], v[20:21] offset1:1
	s_waitcnt lgkmcnt(0)
	; wave barrier
	s_waitcnt lgkmcnt(0)
	ds_read_b128 v[6:9], v38 offset:1024
	ds_read_b128 v[10:13], v38 offset:2064
	ds_read_b128 v[14:17], v1
	ds_read_b128 v[18:21], v1 offset:1040
	ds_read_b128 v[22:25], v58 offset:1056
	;; [unrolled: 1-line block ×6, first 2 shown]
	ds_read_b128 v[42:45], v42
	s_waitcnt lgkmcnt(9)
	v_mul_f64 v[46:47], v[8:9], v[8:9]
	s_waitcnt lgkmcnt(7)
	v_mul_f64 v[48:49], v[8:9], v[16:17]
	v_mul_f64 v[8:9], v[8:9], -v[14:15]
	s_waitcnt lgkmcnt(5)
	v_mul_f64 v[50:51], v[24:25], v[24:25]
	v_fmac_f64_e32 v[46:47], v[6:7], v[6:7]
	s_waitcnt lgkmcnt(3)
	v_mul_f64 v[52:53], v[24:25], v[32:33]
	v_mul_f64 v[24:25], v[24:25], -v[30:31]
	v_fmac_f64_e32 v[48:49], v[14:15], v[6:7]
	v_fmac_f64_e32 v[8:9], v[16:17], v[6:7]
	;; [unrolled: 1-line block ×3, first 2 shown]
	v_div_scale_f64 v[6:7], s[0:1], v[46:47], v[46:47], 1.0
	v_fmac_f64_e32 v[52:53], v[30:31], v[22:23]
	v_fmac_f64_e32 v[24:25], v[32:33], v[22:23]
	v_div_scale_f64 v[16:17], s[0:1], v[50:51], v[50:51], 1.0
	v_rcp_f64_e32 v[22:23], v[6:7]
	v_rcp_f64_e32 v[30:31], v[16:17]
	v_div_scale_f64 v[14:15], vcc, 1.0, v[46:47], 1.0
	v_fma_f64 v[54:55], -v[6:7], v[22:23], 1.0
	v_fma_f64 v[56:57], -v[16:17], v[30:31], 1.0
	v_fmac_f64_e32 v[22:23], v[22:23], v[54:55]
	v_fmac_f64_e32 v[30:31], v[30:31], v[56:57]
	v_fma_f64 v[54:55], -v[6:7], v[22:23], 1.0
	v_fma_f64 v[56:57], -v[16:17], v[30:31], 1.0
	v_fmac_f64_e32 v[22:23], v[22:23], v[54:55]
	v_div_scale_f64 v[32:33], s[0:1], 1.0, v[50:51], 1.0
	v_fmac_f64_e32 v[30:31], v[30:31], v[56:57]
	v_mul_f64 v[54:55], v[14:15], v[22:23]
	v_mul_f64 v[56:57], v[32:33], v[30:31]
	v_fma_f64 v[6:7], -v[6:7], v[54:55], v[14:15]
	v_fma_f64 v[14:15], -v[16:17], v[56:57], v[32:33]
	v_div_fmas_f64 v[6:7], v[6:7], v[22:23], v[54:55]
	s_mov_b64 vcc, s[0:1]
	v_div_fixup_f64 v[6:7], v[6:7], v[46:47], 1.0
	v_div_fmas_f64 v[14:15], v[14:15], v[30:31], v[56:57]
	v_mul_f64 v[22:23], v[6:7], v[48:49]
	v_mul_f64 v[30:31], v[6:7], v[8:9]
	v_div_fixup_f64 v[6:7], v[14:15], v[50:51], 1.0
	v_mul_f64 v[32:33], v[6:7], v[52:53]
	v_mul_f64 v[24:25], v[6:7], v[24:25]
	v_mul_f64 v[6:7], v[30:31], -v[12:13]
	v_mul_f64 v[8:9], v[30:31], v[10:11]
	v_fmac_f64_e32 v[6:7], v[10:11], v[22:23]
	v_fmac_f64_e32 v[8:9], v[12:13], v[22:23]
	v_mul_f64 v[10:11], v[24:25], -v[28:29]
	v_mul_f64 v[12:13], v[24:25], v[26:27]
	v_add_f64 v[6:7], v[18:19], -v[6:7]
	v_add_f64 v[8:9], v[20:21], -v[8:9]
	v_fmac_f64_e32 v[10:11], v[26:27], v[32:33]
	v_fmac_f64_e32 v[12:13], v[28:29], v[32:33]
	v_add_f64 v[6:7], v[6:7], -v[10:11]
	v_add_f64 v[8:9], v[8:9], -v[12:13]
	ds_read_b128 v[10:13], v58 offset:4176
	s_waitcnt lgkmcnt(2)
	v_mul_f64 v[14:15], v[30:31], -v[40:41]
	v_mul_f64 v[16:17], v[30:31], v[38:39]
	v_fmac_f64_e32 v[14:15], v[38:39], v[22:23]
	v_fmac_f64_e32 v[16:17], v[40:41], v[22:23]
	v_add_f64 v[18:19], v[34:35], -v[14:15]
	v_add_f64 v[20:21], v[36:37], -v[16:17]
	ds_read_b128 v[14:17], v58 offset:2096
	s_waitcnt lgkmcnt(1)
	v_mul_f64 v[26:27], v[24:25], -v[12:13]
	v_mul_f64 v[28:29], v[24:25], v[10:11]
	v_fmac_f64_e32 v[26:27], v[10:11], v[32:33]
	v_fmac_f64_e32 v[28:29], v[12:13], v[32:33]
	v_add_f64 v[10:11], v[18:19], -v[26:27]
	v_add_f64 v[12:13], v[20:21], -v[28:29]
	v_mul_f64 v[18:19], v[30:31], v[44:45]
	v_mul_f64 v[20:21], v[30:31], -v[42:43]
	v_fma_f64 v[18:19], -v[42:43], v[22:23], v[18:19]
	v_fma_f64 v[20:21], -v[44:45], v[22:23], v[20:21]
	s_waitcnt lgkmcnt(0)
	v_mul_f64 v[22:23], v[24:25], v[16:17]
	v_fma_f64 v[22:23], -v[14:15], v[32:33], v[22:23]
	v_mul_f64 v[14:15], v[24:25], -v[14:15]
	v_fma_f64 v[24:25], -v[16:17], v[32:33], v[14:15]
	s_waitcnt lgkmcnt(0)
	; wave barrier
	ds_write_b128 v1, v[6:9] offset:1040
	ds_write_b128 v1, v[10:13] offset:4160
	ds_write_b128 v1, v[18:21]
	ds_write_b128 v1, v[22:25] offset:2080
	v_max_u32_e32 v6, 2, v0
	v_lshlrev_b32_e32 v40, 4, v6
	s_waitcnt lgkmcnt(0)
	; wave barrier
	s_waitcnt lgkmcnt(0)
	ds_read_b128 v[6:9], v40 offset:1008
	ds_read_b128 v[10:13], v40 offset:2048
	v_min_u32_e32 v24, 61, v0
	v_lshlrev_b32_e32 v42, 4, v24
	v_subrev_u32_e32 v41, 32, v40
	s_waitcnt lgkmcnt(1)
	v_mul_f64 v[18:19], v[8:9], v[8:9]
	v_fmac_f64_e32 v[18:19], v[6:7], v[6:7]
	v_div_scale_f64 v[14:15], s[0:1], v[18:19], v[18:19], 1.0
	v_rcp_f64_e32 v[16:17], v[14:15]
	v_fma_f64 v[20:21], -v[14:15], v[16:17], 1.0
	v_fmac_f64_e32 v[16:17], v[16:17], v[20:21]
	v_fma_f64 v[20:21], -v[14:15], v[16:17], 1.0
	v_fmac_f64_e32 v[16:17], v[16:17], v[20:21]
	v_div_scale_f64 v[20:21], vcc, 1.0, v[18:19], 1.0
	v_mul_f64 v[22:23], v[20:21], v[16:17]
	v_fma_f64 v[14:15], -v[14:15], v[22:23], v[20:21]
	s_nop 1
	v_div_fmas_f64 v[20:21], v[14:15], v[16:17], v[22:23]
	ds_read_b128 v[14:17], v1
	v_div_fixup_f64 v[30:31], v[20:21], v[18:19], 1.0
	ds_read_b128 v[18:21], v1 offset:1040
	ds_read_b128 v[22:25], v42 offset:1072
	s_waitcnt lgkmcnt(2)
	v_mul_f64 v[26:27], v[8:9], v[16:17]
	v_mul_f64 v[8:9], v[8:9], -v[14:15]
	s_waitcnt lgkmcnt(0)
	v_mul_f64 v[34:35], v[24:25], v[24:25]
	v_fmac_f64_e32 v[34:35], v[22:23], v[22:23]
	v_div_scale_f64 v[36:37], s[0:1], v[34:35], v[34:35], 1.0
	v_rcp_f64_e32 v[38:39], v[36:37]
	v_fmac_f64_e32 v[26:27], v[14:15], v[6:7]
	v_fmac_f64_e32 v[8:9], v[16:17], v[6:7]
	v_mul_f64 v[32:33], v[30:31], v[26:27]
	v_fma_f64 v[6:7], -v[36:37], v[38:39], 1.0
	v_fmac_f64_e32 v[38:39], v[38:39], v[6:7]
	v_fma_f64 v[6:7], -v[36:37], v[38:39], 1.0
	v_fmac_f64_e32 v[38:39], v[38:39], v[6:7]
	v_div_scale_f64 v[6:7], vcc, 1.0, v[34:35], 1.0
	v_mul_f64 v[14:15], v[6:7], v[38:39]
	v_mul_f64 v[30:31], v[30:31], v[8:9]
	v_fma_f64 v[16:17], -v[36:37], v[14:15], v[6:7]
	ds_read_b128 v[6:9], v1 offset:2080
	v_div_fmas_f64 v[14:15], v[16:17], v[38:39], v[14:15]
	v_div_fixup_f64 v[34:35], v[14:15], v[34:35], 1.0
	ds_read_b128 v[14:17], v1 offset:4160
	ds_read_b128 v[26:29], v42 offset:32
	s_waitcnt lgkmcnt(2)
	v_mul_f64 v[36:37], v[24:25], v[8:9]
	v_fmac_f64_e32 v[36:37], v[6:7], v[22:23]
	v_mul_f64 v[6:7], v[24:25], -v[6:7]
	v_fmac_f64_e32 v[6:7], v[8:9], v[22:23]
	ds_read_b128 v[22:25], v42 offset:4192
	v_mul_f64 v[36:37], v[34:35], v[36:37]
	v_mul_f64 v[34:35], v[34:35], v[6:7]
	v_mul_f64 v[6:7], v[30:31], -v[12:13]
	v_mul_f64 v[8:9], v[30:31], v[10:11]
	v_fmac_f64_e32 v[6:7], v[10:11], v[32:33]
	v_fmac_f64_e32 v[8:9], v[12:13], v[32:33]
	v_add_f64 v[10:11], v[18:19], -v[6:7]
	v_add_f64 v[12:13], v[20:21], -v[8:9]
	ds_read_b128 v[6:9], v40 offset:4128
	s_waitcnt lgkmcnt(2)
	v_mul_f64 v[18:19], v[34:35], -v[28:29]
	v_mul_f64 v[20:21], v[34:35], v[26:27]
	v_fmac_f64_e32 v[18:19], v[26:27], v[36:37]
	v_fmac_f64_e32 v[20:21], v[28:29], v[36:37]
	v_add_f64 v[10:11], v[10:11], -v[18:19]
	v_add_f64 v[12:13], v[12:13], -v[20:21]
	ds_read_b128 v[18:21], v41
	s_waitcnt lgkmcnt(1)
	v_mul_f64 v[26:27], v[30:31], -v[8:9]
	v_fmac_f64_e32 v[26:27], v[6:7], v[32:33]
	v_mul_f64 v[6:7], v[30:31], v[6:7]
	v_fmac_f64_e32 v[6:7], v[8:9], v[32:33]
	v_add_f64 v[14:15], v[14:15], -v[26:27]
	v_add_f64 v[16:17], v[16:17], -v[6:7]
	ds_read_b128 v[6:9], v42 offset:2112
	v_mul_f64 v[26:27], v[34:35], -v[24:25]
	v_fmac_f64_e32 v[26:27], v[22:23], v[36:37]
	v_mul_f64 v[22:23], v[34:35], v[22:23]
	v_fmac_f64_e32 v[22:23], v[24:25], v[36:37]
	v_add_f64 v[16:17], v[16:17], -v[22:23]
	s_waitcnt lgkmcnt(1)
	v_mul_f64 v[22:23], v[30:31], v[20:21]
	v_fma_f64 v[22:23], -v[18:19], v[32:33], v[22:23]
	v_mul_f64 v[18:19], v[30:31], -v[18:19]
	v_fma_f64 v[24:25], -v[20:21], v[32:33], v[18:19]
	s_waitcnt lgkmcnt(0)
	v_mul_f64 v[18:19], v[34:35], v[8:9]
	v_fma_f64 v[18:19], -v[6:7], v[36:37], v[18:19]
	v_mul_f64 v[6:7], v[34:35], -v[6:7]
	v_fma_f64 v[20:21], -v[8:9], v[36:37], v[6:7]
	v_max_u32_e32 v6, 4, v0
	v_lshlrev_b32_e32 v40, 4, v6
	v_add_f64 v[14:15], v[14:15], -v[26:27]
	s_waitcnt lgkmcnt(0)
	; wave barrier
	ds_write_b128 v1, v[10:13] offset:1040
	ds_write_b128 v1, v[14:17] offset:4160
	ds_write_b128 v1, v[22:25]
	ds_write_b128 v1, v[18:21] offset:2080
	s_waitcnt lgkmcnt(0)
	; wave barrier
	s_waitcnt lgkmcnt(0)
	ds_read_b128 v[6:9], v40 offset:976
	ds_read_b128 v[10:13], v40 offset:2016
	v_min_u32_e32 v24, 59, v0
	v_lshlrev_b32_e32 v42, 4, v24
	v_subrev_u32_e32 v41, 64, v40
	s_waitcnt lgkmcnt(1)
	v_mul_f64 v[18:19], v[8:9], v[8:9]
	v_fmac_f64_e32 v[18:19], v[6:7], v[6:7]
	v_div_scale_f64 v[14:15], s[0:1], v[18:19], v[18:19], 1.0
	v_rcp_f64_e32 v[16:17], v[14:15]
	v_fma_f64 v[20:21], -v[14:15], v[16:17], 1.0
	v_fmac_f64_e32 v[16:17], v[16:17], v[20:21]
	v_fma_f64 v[20:21], -v[14:15], v[16:17], 1.0
	v_fmac_f64_e32 v[16:17], v[16:17], v[20:21]
	v_div_scale_f64 v[20:21], vcc, 1.0, v[18:19], 1.0
	v_mul_f64 v[22:23], v[20:21], v[16:17]
	v_fma_f64 v[14:15], -v[14:15], v[22:23], v[20:21]
	s_nop 1
	v_div_fmas_f64 v[20:21], v[14:15], v[16:17], v[22:23]
	ds_read_b128 v[14:17], v1
	v_div_fixup_f64 v[30:31], v[20:21], v[18:19], 1.0
	ds_read_b128 v[18:21], v1 offset:1040
	ds_read_b128 v[22:25], v42 offset:1104
	s_waitcnt lgkmcnt(2)
	v_mul_f64 v[26:27], v[8:9], v[16:17]
	v_mul_f64 v[8:9], v[8:9], -v[14:15]
	s_waitcnt lgkmcnt(0)
	v_mul_f64 v[34:35], v[24:25], v[24:25]
	v_fmac_f64_e32 v[34:35], v[22:23], v[22:23]
	v_div_scale_f64 v[36:37], s[0:1], v[34:35], v[34:35], 1.0
	v_rcp_f64_e32 v[38:39], v[36:37]
	v_fmac_f64_e32 v[26:27], v[14:15], v[6:7]
	v_fmac_f64_e32 v[8:9], v[16:17], v[6:7]
	v_mul_f64 v[32:33], v[30:31], v[26:27]
	v_fma_f64 v[6:7], -v[36:37], v[38:39], 1.0
	v_fmac_f64_e32 v[38:39], v[38:39], v[6:7]
	v_fma_f64 v[6:7], -v[36:37], v[38:39], 1.0
	v_fmac_f64_e32 v[38:39], v[38:39], v[6:7]
	v_div_scale_f64 v[6:7], vcc, 1.0, v[34:35], 1.0
	v_mul_f64 v[14:15], v[6:7], v[38:39]
	v_mul_f64 v[30:31], v[30:31], v[8:9]
	v_fma_f64 v[16:17], -v[36:37], v[14:15], v[6:7]
	ds_read_b128 v[6:9], v1 offset:2080
	v_div_fmas_f64 v[14:15], v[16:17], v[38:39], v[14:15]
	v_div_fixup_f64 v[34:35], v[14:15], v[34:35], 1.0
	ds_read_b128 v[14:17], v1 offset:4160
	ds_read_b128 v[26:29], v42 offset:64
	s_waitcnt lgkmcnt(2)
	v_mul_f64 v[36:37], v[24:25], v[8:9]
	v_fmac_f64_e32 v[36:37], v[6:7], v[22:23]
	v_mul_f64 v[6:7], v[24:25], -v[6:7]
	v_fmac_f64_e32 v[6:7], v[8:9], v[22:23]
	ds_read_b128 v[22:25], v42 offset:4224
	v_mul_f64 v[36:37], v[34:35], v[36:37]
	v_mul_f64 v[34:35], v[34:35], v[6:7]
	v_mul_f64 v[6:7], v[30:31], -v[12:13]
	v_mul_f64 v[8:9], v[30:31], v[10:11]
	v_fmac_f64_e32 v[6:7], v[10:11], v[32:33]
	v_fmac_f64_e32 v[8:9], v[12:13], v[32:33]
	v_add_f64 v[10:11], v[18:19], -v[6:7]
	v_add_f64 v[12:13], v[20:21], -v[8:9]
	ds_read_b128 v[6:9], v40 offset:4096
	s_waitcnt lgkmcnt(2)
	v_mul_f64 v[18:19], v[34:35], -v[28:29]
	v_mul_f64 v[20:21], v[34:35], v[26:27]
	v_fmac_f64_e32 v[18:19], v[26:27], v[36:37]
	v_fmac_f64_e32 v[20:21], v[28:29], v[36:37]
	v_add_f64 v[10:11], v[10:11], -v[18:19]
	v_add_f64 v[12:13], v[12:13], -v[20:21]
	ds_read_b128 v[18:21], v41
	s_waitcnt lgkmcnt(1)
	v_mul_f64 v[26:27], v[30:31], -v[8:9]
	v_fmac_f64_e32 v[26:27], v[6:7], v[32:33]
	v_mul_f64 v[6:7], v[30:31], v[6:7]
	v_fmac_f64_e32 v[6:7], v[8:9], v[32:33]
	v_add_f64 v[14:15], v[14:15], -v[26:27]
	v_add_f64 v[16:17], v[16:17], -v[6:7]
	ds_read_b128 v[6:9], v42 offset:2144
	v_mul_f64 v[26:27], v[34:35], -v[24:25]
	v_fmac_f64_e32 v[26:27], v[22:23], v[36:37]
	v_mul_f64 v[22:23], v[34:35], v[22:23]
	v_fmac_f64_e32 v[22:23], v[24:25], v[36:37]
	v_add_f64 v[16:17], v[16:17], -v[22:23]
	s_waitcnt lgkmcnt(1)
	v_mul_f64 v[22:23], v[30:31], v[20:21]
	v_fma_f64 v[22:23], -v[18:19], v[32:33], v[22:23]
	v_mul_f64 v[18:19], v[30:31], -v[18:19]
	v_fma_f64 v[24:25], -v[20:21], v[32:33], v[18:19]
	s_waitcnt lgkmcnt(0)
	v_mul_f64 v[18:19], v[34:35], v[8:9]
	v_fma_f64 v[18:19], -v[6:7], v[36:37], v[18:19]
	v_mul_f64 v[6:7], v[34:35], -v[6:7]
	v_fma_f64 v[20:21], -v[8:9], v[36:37], v[6:7]
	v_max_u32_e32 v6, 8, v0
	v_lshlrev_b32_e32 v40, 4, v6
	v_add_f64 v[14:15], v[14:15], -v[26:27]
	s_waitcnt lgkmcnt(0)
	; wave barrier
	ds_write_b128 v1, v[10:13] offset:1040
	ds_write_b128 v1, v[14:17] offset:4160
	ds_write_b128 v1, v[22:25]
	ds_write_b128 v1, v[18:21] offset:2080
	s_waitcnt lgkmcnt(0)
	; wave barrier
	s_waitcnt lgkmcnt(0)
	ds_read_b128 v[6:9], v40 offset:912
	ds_read_b128 v[10:13], v40 offset:1952
	v_min_u32_e32 v24, 55, v0
	v_lshlrev_b32_e32 v42, 4, v24
	v_add_u32_e32 v41, 0xffffff80, v40
	s_waitcnt lgkmcnt(1)
	v_mul_f64 v[18:19], v[8:9], v[8:9]
	v_fmac_f64_e32 v[18:19], v[6:7], v[6:7]
	v_div_scale_f64 v[14:15], s[0:1], v[18:19], v[18:19], 1.0
	v_rcp_f64_e32 v[16:17], v[14:15]
	v_fma_f64 v[20:21], -v[14:15], v[16:17], 1.0
	v_fmac_f64_e32 v[16:17], v[16:17], v[20:21]
	v_fma_f64 v[20:21], -v[14:15], v[16:17], 1.0
	v_fmac_f64_e32 v[16:17], v[16:17], v[20:21]
	v_div_scale_f64 v[20:21], vcc, 1.0, v[18:19], 1.0
	v_mul_f64 v[22:23], v[20:21], v[16:17]
	v_fma_f64 v[14:15], -v[14:15], v[22:23], v[20:21]
	s_nop 1
	v_div_fmas_f64 v[20:21], v[14:15], v[16:17], v[22:23]
	ds_read_b128 v[14:17], v1
	v_div_fixup_f64 v[30:31], v[20:21], v[18:19], 1.0
	ds_read_b128 v[18:21], v1 offset:1040
	ds_read_b128 v[22:25], v42 offset:1168
	s_waitcnt lgkmcnt(2)
	v_mul_f64 v[26:27], v[8:9], v[16:17]
	v_mul_f64 v[8:9], v[8:9], -v[14:15]
	s_waitcnt lgkmcnt(0)
	v_mul_f64 v[34:35], v[24:25], v[24:25]
	v_fmac_f64_e32 v[34:35], v[22:23], v[22:23]
	v_div_scale_f64 v[36:37], s[0:1], v[34:35], v[34:35], 1.0
	v_rcp_f64_e32 v[38:39], v[36:37]
	v_fmac_f64_e32 v[26:27], v[14:15], v[6:7]
	v_fmac_f64_e32 v[8:9], v[16:17], v[6:7]
	v_mul_f64 v[32:33], v[30:31], v[26:27]
	v_fma_f64 v[6:7], -v[36:37], v[38:39], 1.0
	v_fmac_f64_e32 v[38:39], v[38:39], v[6:7]
	v_fma_f64 v[6:7], -v[36:37], v[38:39], 1.0
	v_fmac_f64_e32 v[38:39], v[38:39], v[6:7]
	v_div_scale_f64 v[6:7], vcc, 1.0, v[34:35], 1.0
	v_mul_f64 v[14:15], v[6:7], v[38:39]
	v_mul_f64 v[30:31], v[30:31], v[8:9]
	v_fma_f64 v[16:17], -v[36:37], v[14:15], v[6:7]
	ds_read_b128 v[6:9], v1 offset:2080
	v_div_fmas_f64 v[14:15], v[16:17], v[38:39], v[14:15]
	v_div_fixup_f64 v[34:35], v[14:15], v[34:35], 1.0
	ds_read_b128 v[14:17], v1 offset:4160
	ds_read_b128 v[26:29], v42 offset:128
	s_waitcnt lgkmcnt(2)
	v_mul_f64 v[36:37], v[24:25], v[8:9]
	v_fmac_f64_e32 v[36:37], v[6:7], v[22:23]
	v_mul_f64 v[6:7], v[24:25], -v[6:7]
	v_fmac_f64_e32 v[6:7], v[8:9], v[22:23]
	ds_read_b128 v[22:25], v42 offset:4288
	v_mul_f64 v[36:37], v[34:35], v[36:37]
	v_mul_f64 v[34:35], v[34:35], v[6:7]
	v_mul_f64 v[6:7], v[30:31], -v[12:13]
	v_mul_f64 v[8:9], v[30:31], v[10:11]
	v_fmac_f64_e32 v[6:7], v[10:11], v[32:33]
	v_fmac_f64_e32 v[8:9], v[12:13], v[32:33]
	v_add_f64 v[10:11], v[18:19], -v[6:7]
	v_add_f64 v[12:13], v[20:21], -v[8:9]
	ds_read_b128 v[6:9], v40 offset:4032
	s_waitcnt lgkmcnt(2)
	v_mul_f64 v[18:19], v[34:35], -v[28:29]
	v_mul_f64 v[20:21], v[34:35], v[26:27]
	v_fmac_f64_e32 v[18:19], v[26:27], v[36:37]
	v_fmac_f64_e32 v[20:21], v[28:29], v[36:37]
	v_add_f64 v[10:11], v[10:11], -v[18:19]
	v_add_f64 v[12:13], v[12:13], -v[20:21]
	ds_read_b128 v[18:21], v41
	s_waitcnt lgkmcnt(1)
	v_mul_f64 v[26:27], v[30:31], -v[8:9]
	v_fmac_f64_e32 v[26:27], v[6:7], v[32:33]
	v_mul_f64 v[6:7], v[30:31], v[6:7]
	v_fmac_f64_e32 v[6:7], v[8:9], v[32:33]
	v_add_f64 v[14:15], v[14:15], -v[26:27]
	v_add_f64 v[16:17], v[16:17], -v[6:7]
	ds_read_b128 v[6:9], v42 offset:2208
	v_mul_f64 v[26:27], v[34:35], -v[24:25]
	v_fmac_f64_e32 v[26:27], v[22:23], v[36:37]
	v_mul_f64 v[22:23], v[34:35], v[22:23]
	v_fmac_f64_e32 v[22:23], v[24:25], v[36:37]
	v_add_f64 v[16:17], v[16:17], -v[22:23]
	s_waitcnt lgkmcnt(1)
	v_mul_f64 v[22:23], v[30:31], v[20:21]
	v_fma_f64 v[22:23], -v[18:19], v[32:33], v[22:23]
	v_mul_f64 v[18:19], v[30:31], -v[18:19]
	v_fma_f64 v[24:25], -v[20:21], v[32:33], v[18:19]
	s_waitcnt lgkmcnt(0)
	v_mul_f64 v[18:19], v[34:35], v[8:9]
	v_fma_f64 v[18:19], -v[6:7], v[36:37], v[18:19]
	v_mul_f64 v[6:7], v[34:35], -v[6:7]
	v_fma_f64 v[20:21], -v[8:9], v[36:37], v[6:7]
	v_max_u32_e32 v6, 16, v0
	v_lshlrev_b32_e32 v40, 4, v6
	v_add_f64 v[14:15], v[14:15], -v[26:27]
	s_waitcnt lgkmcnt(0)
	; wave barrier
	ds_write_b128 v1, v[10:13] offset:1040
	ds_write_b128 v1, v[14:17] offset:4160
	ds_write_b128 v1, v[22:25]
	ds_write_b128 v1, v[18:21] offset:2080
	s_waitcnt lgkmcnt(0)
	; wave barrier
	s_waitcnt lgkmcnt(0)
	ds_read_b128 v[6:9], v40 offset:784
	ds_read_b128 v[10:13], v40 offset:1824
	v_min_u32_e32 v24, 47, v0
	v_lshlrev_b32_e32 v42, 4, v24
	v_add_u32_e32 v41, 0xffffff00, v40
	s_waitcnt lgkmcnt(1)
	v_mul_f64 v[18:19], v[8:9], v[8:9]
	v_fmac_f64_e32 v[18:19], v[6:7], v[6:7]
	v_div_scale_f64 v[14:15], s[0:1], v[18:19], v[18:19], 1.0
	v_rcp_f64_e32 v[16:17], v[14:15]
	v_fma_f64 v[20:21], -v[14:15], v[16:17], 1.0
	v_fmac_f64_e32 v[16:17], v[16:17], v[20:21]
	v_fma_f64 v[20:21], -v[14:15], v[16:17], 1.0
	v_fmac_f64_e32 v[16:17], v[16:17], v[20:21]
	v_div_scale_f64 v[20:21], vcc, 1.0, v[18:19], 1.0
	v_mul_f64 v[22:23], v[20:21], v[16:17]
	v_fma_f64 v[14:15], -v[14:15], v[22:23], v[20:21]
	s_nop 1
	v_div_fmas_f64 v[20:21], v[14:15], v[16:17], v[22:23]
	ds_read_b128 v[14:17], v1
	v_div_fixup_f64 v[30:31], v[20:21], v[18:19], 1.0
	ds_read_b128 v[18:21], v1 offset:1040
	ds_read_b128 v[22:25], v42 offset:1296
	s_waitcnt lgkmcnt(2)
	v_mul_f64 v[26:27], v[8:9], v[16:17]
	v_mul_f64 v[8:9], v[8:9], -v[14:15]
	s_waitcnt lgkmcnt(0)
	v_mul_f64 v[34:35], v[24:25], v[24:25]
	v_fmac_f64_e32 v[34:35], v[22:23], v[22:23]
	v_div_scale_f64 v[36:37], s[0:1], v[34:35], v[34:35], 1.0
	v_rcp_f64_e32 v[38:39], v[36:37]
	v_fmac_f64_e32 v[26:27], v[14:15], v[6:7]
	v_fmac_f64_e32 v[8:9], v[16:17], v[6:7]
	v_mul_f64 v[32:33], v[30:31], v[26:27]
	v_fma_f64 v[6:7], -v[36:37], v[38:39], 1.0
	v_fmac_f64_e32 v[38:39], v[38:39], v[6:7]
	v_fma_f64 v[6:7], -v[36:37], v[38:39], 1.0
	v_fmac_f64_e32 v[38:39], v[38:39], v[6:7]
	v_div_scale_f64 v[6:7], vcc, 1.0, v[34:35], 1.0
	v_mul_f64 v[14:15], v[6:7], v[38:39]
	v_mul_f64 v[30:31], v[30:31], v[8:9]
	v_fma_f64 v[16:17], -v[36:37], v[14:15], v[6:7]
	ds_read_b128 v[6:9], v1 offset:2080
	v_div_fmas_f64 v[14:15], v[16:17], v[38:39], v[14:15]
	v_div_fixup_f64 v[34:35], v[14:15], v[34:35], 1.0
	ds_read_b128 v[14:17], v1 offset:4160
	ds_read_b128 v[26:29], v42 offset:256
	s_waitcnt lgkmcnt(2)
	v_mul_f64 v[36:37], v[24:25], v[8:9]
	v_fmac_f64_e32 v[36:37], v[6:7], v[22:23]
	v_mul_f64 v[6:7], v[24:25], -v[6:7]
	v_fmac_f64_e32 v[6:7], v[8:9], v[22:23]
	ds_read_b128 v[22:25], v42 offset:4416
	v_mul_f64 v[36:37], v[34:35], v[36:37]
	v_mul_f64 v[34:35], v[34:35], v[6:7]
	v_mul_f64 v[6:7], v[30:31], -v[12:13]
	v_mul_f64 v[8:9], v[30:31], v[10:11]
	v_fmac_f64_e32 v[6:7], v[10:11], v[32:33]
	v_fmac_f64_e32 v[8:9], v[12:13], v[32:33]
	v_add_f64 v[10:11], v[18:19], -v[6:7]
	v_add_f64 v[12:13], v[20:21], -v[8:9]
	ds_read_b128 v[6:9], v40 offset:3904
	s_waitcnt lgkmcnt(2)
	v_mul_f64 v[18:19], v[34:35], -v[28:29]
	v_mul_f64 v[20:21], v[34:35], v[26:27]
	v_fmac_f64_e32 v[18:19], v[26:27], v[36:37]
	v_fmac_f64_e32 v[20:21], v[28:29], v[36:37]
	v_add_f64 v[10:11], v[10:11], -v[18:19]
	v_add_f64 v[12:13], v[12:13], -v[20:21]
	ds_read_b128 v[18:21], v41
	s_waitcnt lgkmcnt(1)
	v_mul_f64 v[26:27], v[30:31], -v[8:9]
	v_fmac_f64_e32 v[26:27], v[6:7], v[32:33]
	v_mul_f64 v[6:7], v[30:31], v[6:7]
	v_fmac_f64_e32 v[6:7], v[8:9], v[32:33]
	v_add_f64 v[14:15], v[14:15], -v[26:27]
	v_add_f64 v[16:17], v[16:17], -v[6:7]
	ds_read_b128 v[6:9], v42 offset:2336
	v_mul_f64 v[26:27], v[34:35], -v[24:25]
	v_fmac_f64_e32 v[26:27], v[22:23], v[36:37]
	v_mul_f64 v[22:23], v[34:35], v[22:23]
	v_fmac_f64_e32 v[22:23], v[24:25], v[36:37]
	v_add_f64 v[16:17], v[16:17], -v[22:23]
	s_waitcnt lgkmcnt(1)
	v_mul_f64 v[22:23], v[30:31], v[20:21]
	v_fma_f64 v[22:23], -v[18:19], v[32:33], v[22:23]
	v_mul_f64 v[18:19], v[30:31], -v[18:19]
	v_fma_f64 v[24:25], -v[20:21], v[32:33], v[18:19]
	s_waitcnt lgkmcnt(0)
	v_mul_f64 v[18:19], v[34:35], v[8:9]
	v_fma_f64 v[18:19], -v[6:7], v[36:37], v[18:19]
	v_mul_f64 v[6:7], v[34:35], -v[6:7]
	v_cmp_gt_u32_e32 vcc, 32, v0
	v_add_f64 v[14:15], v[14:15], -v[26:27]
	v_fma_f64 v[20:21], -v[8:9], v[36:37], v[6:7]
	s_waitcnt lgkmcnt(0)
	; wave barrier
	ds_write_b128 v1, v[10:13] offset:1040
	ds_write_b128 v1, v[14:17] offset:4160
	ds_write_b128 v1, v[22:25]
	ds_write_b128 v1, v[18:21] offset:2080
	s_waitcnt lgkmcnt(0)
	; wave barrier
	s_waitcnt lgkmcnt(0)
	s_and_saveexec_b64 s[0:1], vcc
	s_cbranch_execz .LBB68_2
; %bb.1:
	v_add_u32_e32 v10, 0x410, v1
	ds_read_b128 v[6:9], v10 offset:512
	ds_read_b128 v[10:13], v10
	ds_read_b128 v[14:17], v1 offset:512
	ds_read_b128 v[18:21], v5
	s_waitcnt lgkmcnt(2)
	v_mul_f64 v[24:25], v[12:13], v[6:7]
	v_mul_f64 v[22:23], v[12:13], -v[8:9]
	s_waitcnt lgkmcnt(0)
	v_mul_f64 v[28:29], v[16:17], v[18:19]
	v_fmac_f64_e32 v[24:25], v[8:9], v[10:11]
	v_mul_f64 v[26:27], v[16:17], -v[20:21]
	v_fmac_f64_e32 v[28:29], v[20:21], v[14:15]
	v_fmac_f64_e32 v[22:23], v[6:7], v[10:11]
	;; [unrolled: 1-line block ×3, first 2 shown]
	v_add_f64 v[28:29], v[24:25], -v[28:29]
	v_add_f64 v[26:27], v[22:23], -v[26:27]
	v_mul_f64 v[22:23], v[28:29], v[28:29]
	v_fmac_f64_e32 v[22:23], v[26:27], v[26:27]
	v_div_scale_f64 v[24:25], s[2:3], v[22:23], v[22:23], 1.0
	v_rcp_f64_e32 v[30:31], v[24:25]
	v_fma_f64 v[32:33], -v[24:25], v[30:31], 1.0
	v_fmac_f64_e32 v[30:31], v[30:31], v[32:33]
	v_fma_f64 v[32:33], -v[24:25], v[30:31], 1.0
	v_fmac_f64_e32 v[30:31], v[30:31], v[32:33]
	v_div_scale_f64 v[32:33], vcc, 1.0, v[22:23], 1.0
	v_mul_f64 v[34:35], v[32:33], v[30:31]
	v_fma_f64 v[24:25], -v[24:25], v[34:35], v[32:33]
	v_fma_f64 v[32:33], 0, v[28:29], v[26:27]
	s_nop 0
	v_div_fmas_f64 v[24:25], v[24:25], v[30:31], v[34:35]
	v_div_fixup_f64 v[30:31], v[24:25], v[22:23], 1.0
	ds_read_b128 v[22:25], v4
	v_fma_f64 v[26:27], v[26:27], 0, -v[28:29]
	v_mul_f64 v[32:33], v[32:33], v[30:31]
	v_mul_f64 v[30:31], v[26:27], v[30:31]
	ds_read_b128 v[26:29], v4 offset:512
	s_waitcnt lgkmcnt(1)
	v_mul_f64 v[4:5], v[24:25], -v[8:9]
	v_fmac_f64_e32 v[4:5], v[6:7], v[22:23]
	v_mul_f64 v[6:7], v[6:7], v[24:25]
	v_fmac_f64_e32 v[6:7], v[8:9], v[22:23]
	s_waitcnt lgkmcnt(0)
	v_mul_f64 v[8:9], v[28:29], -v[20:21]
	v_fmac_f64_e32 v[8:9], v[18:19], v[26:27]
	v_mul_f64 v[18:19], v[18:19], v[28:29]
	v_fmac_f64_e32 v[18:19], v[20:21], v[26:27]
	v_add_f64 v[8:9], v[4:5], -v[8:9]
	v_add_f64 v[18:19], v[6:7], -v[18:19]
	v_mul_f64 v[4:5], v[30:31], -v[18:19]
	v_mul_f64 v[6:7], v[30:31], v[8:9]
	v_fmac_f64_e32 v[4:5], v[8:9], v[32:33]
	v_fmac_f64_e32 v[6:7], v[18:19], v[32:33]
	ds_write_b128 v1, v[4:7] offset:3120
	v_mul_f64 v[4:5], v[12:13], -v[28:29]
	v_mul_f64 v[6:7], v[12:13], v[26:27]
	v_fmac_f64_e32 v[4:5], v[26:27], v[10:11]
	v_fmac_f64_e32 v[6:7], v[28:29], v[10:11]
	v_mul_f64 v[8:9], v[16:17], -v[24:25]
	v_mul_f64 v[10:11], v[16:17], v[22:23]
	v_fmac_f64_e32 v[8:9], v[22:23], v[14:15]
	v_fmac_f64_e32 v[10:11], v[24:25], v[14:15]
	v_add_f64 v[8:9], v[4:5], -v[8:9]
	v_add_f64 v[10:11], v[6:7], -v[10:11]
	v_mul_f64 v[4:5], v[30:31], -v[10:11]
	v_mul_f64 v[6:7], v[30:31], v[8:9]
	v_fmac_f64_e32 v[4:5], v[8:9], v[32:33]
	v_fmac_f64_e32 v[6:7], v[10:11], v[32:33]
	ds_write_b128 v1, v[4:7] offset:3632
.LBB68_2:
	s_or_b64 exec, exec, s[0:1]
	v_mov_b32_e32 v1, 0xc30
	v_lshl_add_u32 v0, v0, 4, v1
	s_waitcnt lgkmcnt(0)
	; wave barrier
	s_waitcnt lgkmcnt(0)
	ds_read2_b64 v[4:7], v0 offset1:1
	s_waitcnt lgkmcnt(0)
	global_store_dwordx4 v[2:3], v[4:7], off
	s_endpgm
	.section	.rodata,"a",@progbits
	.p2align	6, 0x0
	.amdhsa_kernel _ZN9rocsparseL49gtsv_nopivot_strided_batch_pcr_pow2_shared_kernelILj64E21rocsparse_complex_numIdEEEviiiPKT0_S5_S5_PS3_
		.amdhsa_group_segment_fixed_size 5200
		.amdhsa_private_segment_fixed_size 0
		.amdhsa_kernarg_size 48
		.amdhsa_user_sgpr_count 6
		.amdhsa_user_sgpr_private_segment_buffer 1
		.amdhsa_user_sgpr_dispatch_ptr 0
		.amdhsa_user_sgpr_queue_ptr 0
		.amdhsa_user_sgpr_kernarg_segment_ptr 1
		.amdhsa_user_sgpr_dispatch_id 0
		.amdhsa_user_sgpr_flat_scratch_init 0
		.amdhsa_user_sgpr_kernarg_preload_length 0
		.amdhsa_user_sgpr_kernarg_preload_offset 0
		.amdhsa_user_sgpr_private_segment_size 0
		.amdhsa_uses_dynamic_stack 0
		.amdhsa_system_sgpr_private_segment_wavefront_offset 0
		.amdhsa_system_sgpr_workgroup_id_x 1
		.amdhsa_system_sgpr_workgroup_id_y 0
		.amdhsa_system_sgpr_workgroup_id_z 0
		.amdhsa_system_sgpr_workgroup_info 0
		.amdhsa_system_vgpr_workitem_id 0
		.amdhsa_next_free_vgpr 59
		.amdhsa_next_free_sgpr 16
		.amdhsa_accum_offset 60
		.amdhsa_reserve_vcc 1
		.amdhsa_reserve_flat_scratch 0
		.amdhsa_float_round_mode_32 0
		.amdhsa_float_round_mode_16_64 0
		.amdhsa_float_denorm_mode_32 3
		.amdhsa_float_denorm_mode_16_64 3
		.amdhsa_dx10_clamp 1
		.amdhsa_ieee_mode 1
		.amdhsa_fp16_overflow 0
		.amdhsa_tg_split 0
		.amdhsa_exception_fp_ieee_invalid_op 0
		.amdhsa_exception_fp_denorm_src 0
		.amdhsa_exception_fp_ieee_div_zero 0
		.amdhsa_exception_fp_ieee_overflow 0
		.amdhsa_exception_fp_ieee_underflow 0
		.amdhsa_exception_fp_ieee_inexact 0
		.amdhsa_exception_int_div_zero 0
	.end_amdhsa_kernel
	.section	.text._ZN9rocsparseL49gtsv_nopivot_strided_batch_pcr_pow2_shared_kernelILj64E21rocsparse_complex_numIdEEEviiiPKT0_S5_S5_PS3_,"axG",@progbits,_ZN9rocsparseL49gtsv_nopivot_strided_batch_pcr_pow2_shared_kernelILj64E21rocsparse_complex_numIdEEEviiiPKT0_S5_S5_PS3_,comdat
.Lfunc_end68:
	.size	_ZN9rocsparseL49gtsv_nopivot_strided_batch_pcr_pow2_shared_kernelILj64E21rocsparse_complex_numIdEEEviiiPKT0_S5_S5_PS3_, .Lfunc_end68-_ZN9rocsparseL49gtsv_nopivot_strided_batch_pcr_pow2_shared_kernelILj64E21rocsparse_complex_numIdEEEviiiPKT0_S5_S5_PS3_
                                        ; -- End function
	.section	.AMDGPU.csdata,"",@progbits
; Kernel info:
; codeLenInByte = 4096
; NumSgprs: 20
; NumVgprs: 59
; NumAgprs: 0
; TotalNumVgprs: 59
; ScratchSize: 0
; MemoryBound: 0
; FloatMode: 240
; IeeeMode: 1
; LDSByteSize: 5200 bytes/workgroup (compile time only)
; SGPRBlocks: 2
; VGPRBlocks: 7
; NumSGPRsForWavesPerEU: 20
; NumVGPRsForWavesPerEU: 59
; AccumOffset: 60
; Occupancy: 3
; WaveLimiterHint : 0
; COMPUTE_PGM_RSRC2:SCRATCH_EN: 0
; COMPUTE_PGM_RSRC2:USER_SGPR: 6
; COMPUTE_PGM_RSRC2:TRAP_HANDLER: 0
; COMPUTE_PGM_RSRC2:TGID_X_EN: 1
; COMPUTE_PGM_RSRC2:TGID_Y_EN: 0
; COMPUTE_PGM_RSRC2:TGID_Z_EN: 0
; COMPUTE_PGM_RSRC2:TIDIG_COMP_CNT: 0
; COMPUTE_PGM_RSRC3_GFX90A:ACCUM_OFFSET: 14
; COMPUTE_PGM_RSRC3_GFX90A:TG_SPLIT: 0
	.section	.text._ZN9rocsparseL51gtsv_nopivot_strided_batch_crpcr_pow2_shared_kernelILj64ELj64E21rocsparse_complex_numIdEEEviiiPKT1_S5_S5_PS3_,"axG",@progbits,_ZN9rocsparseL51gtsv_nopivot_strided_batch_crpcr_pow2_shared_kernelILj64ELj64E21rocsparse_complex_numIdEEEviiiPKT1_S5_S5_PS3_,comdat
	.globl	_ZN9rocsparseL51gtsv_nopivot_strided_batch_crpcr_pow2_shared_kernelILj64ELj64E21rocsparse_complex_numIdEEEviiiPKT1_S5_S5_PS3_ ; -- Begin function _ZN9rocsparseL51gtsv_nopivot_strided_batch_crpcr_pow2_shared_kernelILj64ELj64E21rocsparse_complex_numIdEEEviiiPKT1_S5_S5_PS3_
	.p2align	8
	.type	_ZN9rocsparseL51gtsv_nopivot_strided_batch_crpcr_pow2_shared_kernelILj64ELj64E21rocsparse_complex_numIdEEEviiiPKT1_S5_S5_PS3_,@function
_ZN9rocsparseL51gtsv_nopivot_strided_batch_crpcr_pow2_shared_kernelILj64ELj64E21rocsparse_complex_numIdEEEviiiPKT1_S5_S5_PS3_: ; @_ZN9rocsparseL51gtsv_nopivot_strided_batch_crpcr_pow2_shared_kernelILj64ELj64E21rocsparse_complex_numIdEEEviiiPKT1_S5_S5_PS3_
; %bb.0:
	s_load_dword s0, s[4:5], 0x8
	s_load_dwordx8 s[8:15], s[4:5], 0x10
	v_lshlrev_b32_e32 v22, 4, v0
	v_or_b32_e32 v23, 0x2400, v22
	s_waitcnt lgkmcnt(0)
	s_mul_i32 s6, s6, s0
	v_add_u32_e32 v2, s6, v0
	v_ashrrev_i32_e32 v3, 31, v2
	v_lshlrev_b64 v[4:5], 4, v[2:3]
	v_mov_b32_e32 v1, s9
	v_add_co_u32_e32 v14, vcc, s8, v4
	v_add_u32_e32 v2, 64, v2
	v_mov_b32_e32 v3, 0
	v_addc_co_u32_e32 v15, vcc, v1, v5, vcc
	v_lshlrev_b64 v[2:3], 4, v[2:3]
	v_add_co_u32_e32 v16, vcc, s8, v2
	v_addc_co_u32_e32 v17, vcc, v1, v3, vcc
	v_mov_b32_e32 v1, s11
	v_add_co_u32_e32 v18, vcc, s10, v4
	v_addc_co_u32_e32 v19, vcc, v1, v5, vcc
	v_add_co_u32_e32 v20, vcc, s10, v2
	v_addc_co_u32_e32 v21, vcc, v1, v3, vcc
	global_load_dwordx4 v[6:9], v[14:15], off
	global_load_dwordx4 v[10:13], v[16:17], off
	s_nop 0
	global_load_dwordx4 v[14:17], v[18:19], off
	global_load_dwordx4 v[24:27], v[20:21], off
	v_mov_b32_e32 v1, s13
	v_add_co_u32_e32 v18, vcc, s12, v4
	v_addc_co_u32_e32 v19, vcc, v1, v5, vcc
	v_add_co_u32_e32 v20, vcc, s12, v2
	v_addc_co_u32_e32 v21, vcc, v1, v3, vcc
	global_load_dwordx4 v[28:31], v[18:19], off
	global_load_dwordx4 v[32:35], v[20:21], off
	v_mov_b32_e32 v1, s15
	v_add_co_u32_e32 v18, vcc, s14, v4
	v_addc_co_u32_e32 v19, vcc, v1, v5, vcc
	v_add_co_u32_e32 v20, vcc, s14, v2
	v_addc_co_u32_e32 v21, vcc, v1, v3, vcc
	global_load_dwordx4 v[36:39], v[18:19], off
	global_load_dwordx4 v[40:43], v[20:21], off
	v_or_b32_e32 v1, 0xc00, v22
	v_cmp_gt_u32_e64 s[0:1], 64, v0
	v_or_b32_e32 v4, 0x800, v22
	v_or_b32_e32 v3, 0x1000, v22
	;; [unrolled: 1-line block ×4, first 2 shown]
	s_waitcnt vmcnt(7)
	ds_write2_b64 v22, v[6:7], v[8:9] offset1:1
	s_waitcnt vmcnt(6)
	ds_write2_b64 v22, v[10:11], v[12:13] offset0:128 offset1:129
	s_waitcnt vmcnt(5)
	ds_write2_b64 v4, v[14:15], v[16:17] offset1:1
	s_waitcnt vmcnt(4)
	ds_write2_b64 v1, v[24:25], v[26:27] offset1:1
	;; [unrolled: 2-line block ×6, first 2 shown]
	v_lshlrev_b32_e32 v1, 1, v0
	s_waitcnt lgkmcnt(0)
	; wave barrier
	s_waitcnt lgkmcnt(0)
	s_and_saveexec_b64 s[2:3], s[0:1]
	s_cbranch_execz .LBB69_2
; %bb.1:
	v_add_u32_e32 v23, v4, v22
	ds_read_b128 v[4:7], v23
	ds_read_b128 v[8:11], v23 offset:16
	v_add_u32_e32 v48, v22, v22
	ds_read_b128 v[12:15], v48
	ds_read_b128 v[24:27], v48 offset:16
	v_min_u32_e32 v38, 0x7d, v1
	s_waitcnt lgkmcnt(3)
	v_mul_f64 v[16:17], v[6:7], v[6:7]
	v_fmac_f64_e32 v[16:17], v[4:5], v[4:5]
	v_div_scale_f64 v[28:29], s[4:5], v[16:17], v[16:17], 1.0
	v_rcp_f64_e32 v[30:31], v[28:29]
	v_lshlrev_b32_e32 v49, 4, v38
	v_add_u32_e32 v50, v3, v22
	v_fma_f64 v[32:33], -v[28:29], v[30:31], 1.0
	v_fmac_f64_e32 v[30:31], v[30:31], v[32:33]
	v_fma_f64 v[32:33], -v[28:29], v[30:31], 1.0
	v_fmac_f64_e32 v[30:31], v[30:31], v[32:33]
	v_div_scale_f64 v[32:33], vcc, 1.0, v[16:17], 1.0
	v_mul_f64 v[34:35], v[32:33], v[30:31]
	v_fma_f64 v[28:29], -v[28:29], v[34:35], v[32:33]
	s_nop 1
	v_div_fmas_f64 v[28:29], v[28:29], v[30:31], v[34:35]
	v_div_fixup_f64 v[16:17], v[28:29], v[16:17], 1.0
	s_waitcnt lgkmcnt(0)
	v_mul_f64 v[28:29], v[6:7], v[26:27]
	v_fmac_f64_e32 v[28:29], v[24:25], v[4:5]
	v_mul_f64 v[36:37], v[16:17], v[28:29]
	ds_read_b128 v[28:31], v49 offset:2080
	v_mul_f64 v[6:7], v[6:7], -v[24:25]
	v_fmac_f64_e32 v[6:7], v[26:27], v[4:5]
	v_mul_f64 v[16:17], v[16:17], v[6:7]
	ds_read_b128 v[4:7], v49 offset:32
	s_waitcnt lgkmcnt(1)
	v_mul_f64 v[38:39], v[30:31], v[30:31]
	v_fmac_f64_e32 v[38:39], v[28:29], v[28:29]
	v_div_scale_f64 v[40:41], s[4:5], v[38:39], v[38:39], 1.0
	v_rcp_f64_e32 v[42:43], v[40:41]
	ds_read_b128 v[24:27], v50
	ds_read_b128 v[32:35], v50 offset:16
	v_fma_f64 v[44:45], -v[40:41], v[42:43], 1.0
	v_fmac_f64_e32 v[42:43], v[42:43], v[44:45]
	v_fma_f64 v[44:45], -v[40:41], v[42:43], 1.0
	v_fmac_f64_e32 v[42:43], v[42:43], v[44:45]
	v_div_scale_f64 v[44:45], vcc, 1.0, v[38:39], 1.0
	v_mul_f64 v[46:47], v[44:45], v[42:43]
	v_fma_f64 v[40:41], -v[40:41], v[46:47], v[44:45]
	s_nop 1
	v_div_fmas_f64 v[40:41], v[40:41], v[42:43], v[46:47]
	v_div_fixup_f64 v[38:39], v[40:41], v[38:39], 1.0
	s_waitcnt lgkmcnt(0)
	v_mul_f64 v[40:41], v[30:31], v[34:35]
	v_mul_f64 v[30:31], v[30:31], -v[32:33]
	v_fmac_f64_e32 v[30:31], v[34:35], v[28:29]
	v_fmac_f64_e32 v[40:41], v[32:33], v[28:29]
	v_mul_f64 v[28:29], v[38:39], v[30:31]
	v_mul_f64 v[30:31], v[16:17], -v[26:27]
	v_fmac_f64_e32 v[30:31], v[24:25], v[36:37]
	v_mul_f64 v[24:25], v[16:17], v[24:25]
	v_fmac_f64_e32 v[24:25], v[26:27], v[36:37]
	v_mul_f64 v[40:41], v[38:39], v[40:41]
	v_add_f64 v[8:9], v[8:9], -v[30:31]
	v_add_f64 v[10:11], v[10:11], -v[24:25]
	v_mul_f64 v[24:25], v[28:29], -v[6:7]
	v_add_u32_e32 v30, v2, v22
	v_fmac_f64_e32 v[24:25], v[4:5], v[40:41]
	v_mul_f64 v[26:27], v[28:29], v[4:5]
	ds_read_b128 v[2:5], v30
	v_fmac_f64_e32 v[26:27], v[6:7], v[40:41]
	v_add_f64 v[6:7], v[8:9], -v[24:25]
	v_add_f64 v[8:9], v[10:11], -v[26:27]
	ds_write_b128 v23, v[6:9] offset:16
	ds_read_b128 v[6:9], v30 offset:16
	ds_read_b128 v[24:27], v49 offset:8224
	s_waitcnt lgkmcnt(3)
	v_mul_f64 v[10:11], v[16:17], -v[4:5]
	v_fmac_f64_e32 v[10:11], v[2:3], v[36:37]
	v_mul_f64 v[2:3], v[16:17], v[2:3]
	v_fmac_f64_e32 v[2:3], v[4:5], v[36:37]
	s_waitcnt lgkmcnt(1)
	v_add_f64 v[6:7], v[6:7], -v[10:11]
	v_add_f64 v[8:9], v[8:9], -v[2:3]
	ds_read_b128 v[2:5], v49 offset:4128
	s_waitcnt lgkmcnt(1)
	v_mul_f64 v[10:11], v[28:29], -v[26:27]
	v_fmac_f64_e32 v[10:11], v[24:25], v[40:41]
	v_mul_f64 v[24:25], v[28:29], v[24:25]
	v_fmac_f64_e32 v[24:25], v[26:27], v[40:41]
	v_add_f64 v[6:7], v[6:7], -v[10:11]
	v_add_f64 v[8:9], v[8:9], -v[24:25]
	ds_write_b128 v30, v[6:9] offset:16
	v_mul_f64 v[6:7], v[16:17], v[14:15]
	v_mul_f64 v[8:9], v[16:17], -v[12:13]
	v_fma_f64 v[6:7], -v[12:13], v[36:37], v[6:7]
	v_fma_f64 v[8:9], -v[14:15], v[36:37], v[8:9]
	ds_write_b128 v48, v[6:9] offset:16
	s_waitcnt lgkmcnt(2)
	v_mul_f64 v[6:7], v[28:29], v[4:5]
	v_fma_f64 v[6:7], -v[2:3], v[40:41], v[6:7]
	v_mul_f64 v[2:3], v[28:29], -v[2:3]
	v_fma_f64 v[8:9], -v[4:5], v[40:41], v[2:3]
	ds_write_b128 v50, v[6:9] offset:16
.LBB69_2:
	s_or_b64 exec, exec, s[2:3]
	v_lshlrev_b32_e32 v23, 5, v0
	s_waitcnt lgkmcnt(0)
	; wave barrier
	s_waitcnt lgkmcnt(0)
	s_and_saveexec_b64 s[2:3], s[0:1]
	s_cbranch_execz .LBB69_4
; %bb.3:
	ds_read_b128 v[2:5], v23 offset:16
	ds_read_b128 v[6:9], v23 offset:2064
	;; [unrolled: 1-line block ×4, first 2 shown]
	s_waitcnt lgkmcnt(3)
	ds_write_b128 v22, v[2:5] offset:10240
	s_waitcnt lgkmcnt(3)
	ds_write_b128 v22, v[6:9] offset:11264
	;; [unrolled: 2-line block ×4, first 2 shown]
.LBB69_4:
	s_or_b64 exec, exec, s[2:3]
	v_or_b32_e32 v26, 0x2800, v22
	v_or_b32_e32 v25, 0x3000, v22
	;; [unrolled: 1-line block ×4, first 2 shown]
	s_waitcnt lgkmcnt(0)
	; wave barrier
	s_waitcnt lgkmcnt(0)
                                        ; implicit-def: $vgpr6_vgpr7
                                        ; implicit-def: $vgpr14_vgpr15
                                        ; implicit-def: $vgpr2_vgpr3
                                        ; implicit-def: $vgpr10_vgpr11
	s_and_saveexec_b64 s[2:3], s[0:1]
	s_cbranch_execz .LBB69_6
; %bb.5:
	v_max_u32_e32 v2, 1, v0
	v_lshlrev_b32_e32 v48, 4, v2
	ds_read_b128 v[2:5], v48 offset:11248
	ds_read_b128 v[12:15], v48 offset:10224
	v_min_u32_e32 v30, 62, v0
	v_lshlrev_b32_e32 v49, 4, v30
	s_waitcnt lgkmcnt(1)
	v_mul_f64 v[10:11], v[4:5], v[4:5]
	v_fmac_f64_e32 v[10:11], v[2:3], v[2:3]
	v_div_scale_f64 v[6:7], s[4:5], v[10:11], v[10:11], 1.0
	v_rcp_f64_e32 v[8:9], v[6:7]
	v_div_scale_f64 v[16:17], vcc, 1.0, v[10:11], 1.0
	v_fma_f64 v[28:29], -v[6:7], v[8:9], 1.0
	v_fmac_f64_e32 v[8:9], v[8:9], v[28:29]
	v_fma_f64 v[28:29], -v[6:7], v[8:9], 1.0
	v_fmac_f64_e32 v[8:9], v[8:9], v[28:29]
	v_mul_f64 v[28:29], v[16:17], v[8:9]
	v_fma_f64 v[6:7], -v[6:7], v[28:29], v[16:17]
	v_div_fmas_f64 v[16:17], v[6:7], v[8:9], v[28:29]
	ds_read_b128 v[6:9], v26
	ds_read_b128 v[28:31], v25
	ds_read_b128 v[32:35], v49 offset:11280
	v_div_fixup_f64 v[10:11], v[16:17], v[10:11], 1.0
	ds_read_b128 v[36:39], v49 offset:10256
	s_waitcnt lgkmcnt(3)
	v_mul_f64 v[16:17], v[4:5], v[8:9]
	s_waitcnt lgkmcnt(1)
	v_mul_f64 v[40:41], v[34:35], v[34:35]
	v_fmac_f64_e32 v[40:41], v[32:33], v[32:33]
	v_div_scale_f64 v[42:43], s[4:5], v[40:41], v[40:41], 1.0
	v_rcp_f64_e32 v[44:45], v[42:43]
	v_mul_f64 v[4:5], v[4:5], -v[6:7]
	v_fmac_f64_e32 v[16:17], v[6:7], v[2:3]
	v_fmac_f64_e32 v[4:5], v[8:9], v[2:3]
	v_fma_f64 v[2:3], -v[42:43], v[44:45], 1.0
	v_fmac_f64_e32 v[44:45], v[44:45], v[2:3]
	v_fma_f64 v[2:3], -v[42:43], v[44:45], 1.0
	v_fmac_f64_e32 v[44:45], v[44:45], v[2:3]
	v_div_scale_f64 v[2:3], vcc, 1.0, v[40:41], 1.0
	v_mul_f64 v[46:47], v[10:11], v[4:5]
	v_mul_f64 v[4:5], v[2:3], v[44:45]
	v_fma_f64 v[2:3], -v[42:43], v[4:5], v[2:3]
	s_nop 0
	v_div_fmas_f64 v[2:3], v[2:3], v[44:45], v[4:5]
	v_div_fixup_f64 v[6:7], v[2:3], v[40:41], 1.0
	v_mul_f64 v[2:3], v[34:35], v[30:31]
	v_fmac_f64_e32 v[2:3], v[28:29], v[32:33]
	v_mul_f64 v[40:41], v[6:7], v[2:3]
	ds_read_b128 v[2:5], v48 offset:12272
	v_mul_f64 v[8:9], v[34:35], -v[28:29]
	v_fmac_f64_e32 v[8:9], v[30:31], v[32:33]
	ds_read_b128 v[28:31], v27
	ds_read_b128 v[32:35], v24
	v_mul_f64 v[16:17], v[10:11], v[16:17]
	v_mul_f64 v[42:43], v[6:7], v[8:9]
	ds_read_b128 v[6:9], v48 offset:14320
	s_waitcnt lgkmcnt(3)
	v_mul_f64 v[10:11], v[46:47], -v[4:5]
	v_fmac_f64_e32 v[10:11], v[2:3], v[16:17]
	v_mul_f64 v[2:3], v[46:47], v[2:3]
	v_fmac_f64_e32 v[2:3], v[4:5], v[16:17]
	s_waitcnt lgkmcnt(2)
	v_add_f64 v[4:5], v[28:29], -v[10:11]
	v_add_f64 v[10:11], v[30:31], -v[2:3]
	v_mul_f64 v[2:3], v[42:43], -v[38:39]
	v_mul_f64 v[28:29], v[42:43], v[36:37]
	v_fmac_f64_e32 v[2:3], v[36:37], v[40:41]
	v_fmac_f64_e32 v[28:29], v[38:39], v[40:41]
	v_add_f64 v[2:3], v[4:5], -v[2:3]
	v_add_f64 v[4:5], v[10:11], -v[28:29]
	ds_read_b128 v[28:31], v49 offset:14352
	s_waitcnt lgkmcnt(1)
	v_mul_f64 v[10:11], v[46:47], -v[8:9]
	v_fmac_f64_e32 v[10:11], v[6:7], v[16:17]
	v_mul_f64 v[6:7], v[46:47], v[6:7]
	v_fmac_f64_e32 v[6:7], v[8:9], v[16:17]
	v_add_f64 v[8:9], v[32:33], -v[10:11]
	v_add_f64 v[10:11], v[34:35], -v[6:7]
	ds_read_b128 v[32:35], v49 offset:12304
	s_waitcnt lgkmcnt(1)
	v_mul_f64 v[6:7], v[42:43], -v[30:31]
	v_fmac_f64_e32 v[6:7], v[28:29], v[40:41]
	v_mul_f64 v[28:29], v[42:43], v[28:29]
	v_fmac_f64_e32 v[28:29], v[30:31], v[40:41]
	v_add_f64 v[6:7], v[8:9], -v[6:7]
	v_add_f64 v[8:9], v[10:11], -v[28:29]
	v_mul_f64 v[10:11], v[46:47], v[14:15]
	v_fma_f64 v[10:11], -v[12:13], v[16:17], v[10:11]
	v_mul_f64 v[12:13], v[46:47], -v[12:13]
	v_fma_f64 v[12:13], -v[14:15], v[16:17], v[12:13]
	s_waitcnt lgkmcnt(0)
	v_mul_f64 v[14:15], v[42:43], v[34:35]
	v_mul_f64 v[16:17], v[42:43], -v[32:33]
	v_fma_f64 v[14:15], -v[32:33], v[40:41], v[14:15]
	v_fma_f64 v[16:17], -v[34:35], v[40:41], v[16:17]
.LBB69_6:
	s_or_b64 exec, exec, s[2:3]
	s_waitcnt lgkmcnt(0)
	; wave barrier
	s_waitcnt lgkmcnt(0)
	s_and_saveexec_b64 s[2:3], s[0:1]
	s_cbranch_execz .LBB69_8
; %bb.7:
	ds_write_b128 v27, v[2:5]
	ds_write_b128 v24, v[6:9]
	;; [unrolled: 1-line block ×4, first 2 shown]
.LBB69_8:
	s_or_b64 exec, exec, s[2:3]
	s_waitcnt lgkmcnt(0)
	; wave barrier
	s_waitcnt lgkmcnt(0)
	s_and_saveexec_b64 s[2:3], s[0:1]
	s_cbranch_execz .LBB69_10
; %bb.9:
	v_max_u32_e32 v2, 2, v0
	v_lshlrev_b32_e32 v48, 4, v2
	ds_read_b128 v[2:5], v48 offset:11232
	ds_read_b128 v[12:15], v48 offset:10208
	v_min_u32_e32 v30, 61, v0
	v_lshlrev_b32_e32 v49, 4, v30
	s_waitcnt lgkmcnt(1)
	v_mul_f64 v[10:11], v[4:5], v[4:5]
	v_fmac_f64_e32 v[10:11], v[2:3], v[2:3]
	v_div_scale_f64 v[6:7], s[4:5], v[10:11], v[10:11], 1.0
	v_rcp_f64_e32 v[8:9], v[6:7]
	v_div_scale_f64 v[16:17], vcc, 1.0, v[10:11], 1.0
	v_fma_f64 v[28:29], -v[6:7], v[8:9], 1.0
	v_fmac_f64_e32 v[8:9], v[8:9], v[28:29]
	v_fma_f64 v[28:29], -v[6:7], v[8:9], 1.0
	v_fmac_f64_e32 v[8:9], v[8:9], v[28:29]
	v_mul_f64 v[28:29], v[16:17], v[8:9]
	v_fma_f64 v[6:7], -v[6:7], v[28:29], v[16:17]
	v_div_fmas_f64 v[16:17], v[6:7], v[8:9], v[28:29]
	ds_read_b128 v[6:9], v26
	ds_read_b128 v[28:31], v25
	ds_read_b128 v[32:35], v49 offset:11296
	v_div_fixup_f64 v[10:11], v[16:17], v[10:11], 1.0
	ds_read_b128 v[36:39], v49 offset:10272
	s_waitcnt lgkmcnt(3)
	v_mul_f64 v[16:17], v[4:5], v[8:9]
	s_waitcnt lgkmcnt(1)
	v_mul_f64 v[40:41], v[34:35], v[34:35]
	v_fmac_f64_e32 v[40:41], v[32:33], v[32:33]
	v_div_scale_f64 v[42:43], s[4:5], v[40:41], v[40:41], 1.0
	v_rcp_f64_e32 v[44:45], v[42:43]
	v_mul_f64 v[4:5], v[4:5], -v[6:7]
	v_fmac_f64_e32 v[16:17], v[6:7], v[2:3]
	v_fmac_f64_e32 v[4:5], v[8:9], v[2:3]
	v_fma_f64 v[2:3], -v[42:43], v[44:45], 1.0
	v_fmac_f64_e32 v[44:45], v[44:45], v[2:3]
	v_fma_f64 v[2:3], -v[42:43], v[44:45], 1.0
	v_fmac_f64_e32 v[44:45], v[44:45], v[2:3]
	v_div_scale_f64 v[2:3], vcc, 1.0, v[40:41], 1.0
	v_mul_f64 v[46:47], v[10:11], v[4:5]
	v_mul_f64 v[4:5], v[2:3], v[44:45]
	v_fma_f64 v[2:3], -v[42:43], v[4:5], v[2:3]
	s_nop 0
	v_div_fmas_f64 v[2:3], v[2:3], v[44:45], v[4:5]
	v_div_fixup_f64 v[6:7], v[2:3], v[40:41], 1.0
	v_mul_f64 v[2:3], v[34:35], v[30:31]
	v_fmac_f64_e32 v[2:3], v[28:29], v[32:33]
	v_mul_f64 v[40:41], v[6:7], v[2:3]
	ds_read_b128 v[2:5], v48 offset:12256
	v_mul_f64 v[8:9], v[34:35], -v[28:29]
	v_fmac_f64_e32 v[8:9], v[30:31], v[32:33]
	ds_read_b128 v[28:31], v27
	ds_read_b128 v[32:35], v24
	v_mul_f64 v[16:17], v[10:11], v[16:17]
	v_mul_f64 v[42:43], v[6:7], v[8:9]
	ds_read_b128 v[6:9], v48 offset:14304
	s_waitcnt lgkmcnt(3)
	v_mul_f64 v[10:11], v[46:47], -v[4:5]
	v_fmac_f64_e32 v[10:11], v[2:3], v[16:17]
	v_mul_f64 v[2:3], v[46:47], v[2:3]
	v_fmac_f64_e32 v[2:3], v[4:5], v[16:17]
	s_waitcnt lgkmcnt(2)
	v_add_f64 v[4:5], v[28:29], -v[10:11]
	v_add_f64 v[10:11], v[30:31], -v[2:3]
	v_mul_f64 v[2:3], v[42:43], -v[38:39]
	v_mul_f64 v[28:29], v[42:43], v[36:37]
	v_fmac_f64_e32 v[2:3], v[36:37], v[40:41]
	v_fmac_f64_e32 v[28:29], v[38:39], v[40:41]
	v_add_f64 v[2:3], v[4:5], -v[2:3]
	v_add_f64 v[4:5], v[10:11], -v[28:29]
	ds_read_b128 v[28:31], v49 offset:14368
	s_waitcnt lgkmcnt(1)
	v_mul_f64 v[10:11], v[46:47], -v[8:9]
	v_fmac_f64_e32 v[10:11], v[6:7], v[16:17]
	v_mul_f64 v[6:7], v[46:47], v[6:7]
	v_fmac_f64_e32 v[6:7], v[8:9], v[16:17]
	v_add_f64 v[8:9], v[32:33], -v[10:11]
	v_add_f64 v[10:11], v[34:35], -v[6:7]
	ds_read_b128 v[32:35], v49 offset:12320
	s_waitcnt lgkmcnt(1)
	v_mul_f64 v[6:7], v[42:43], -v[30:31]
	v_fmac_f64_e32 v[6:7], v[28:29], v[40:41]
	v_mul_f64 v[28:29], v[42:43], v[28:29]
	v_fmac_f64_e32 v[28:29], v[30:31], v[40:41]
	v_add_f64 v[6:7], v[8:9], -v[6:7]
	v_add_f64 v[8:9], v[10:11], -v[28:29]
	v_mul_f64 v[10:11], v[46:47], v[14:15]
	v_fma_f64 v[10:11], -v[12:13], v[16:17], v[10:11]
	v_mul_f64 v[12:13], v[46:47], -v[12:13]
	v_fma_f64 v[12:13], -v[14:15], v[16:17], v[12:13]
	s_waitcnt lgkmcnt(0)
	v_mul_f64 v[14:15], v[42:43], v[34:35]
	v_mul_f64 v[16:17], v[42:43], -v[32:33]
	v_fma_f64 v[14:15], -v[32:33], v[40:41], v[14:15]
	v_fma_f64 v[16:17], -v[34:35], v[40:41], v[16:17]
.LBB69_10:
	s_or_b64 exec, exec, s[2:3]
	s_waitcnt lgkmcnt(0)
	; wave barrier
	s_and_saveexec_b64 s[2:3], s[0:1]
	s_cbranch_execz .LBB69_12
; %bb.11:
	ds_write_b128 v27, v[2:5]
	ds_write_b128 v24, v[6:9]
	;; [unrolled: 1-line block ×4, first 2 shown]
.LBB69_12:
	s_or_b64 exec, exec, s[2:3]
	s_waitcnt lgkmcnt(0)
	; wave barrier
	s_waitcnt lgkmcnt(0)
	s_and_saveexec_b64 s[2:3], s[0:1]
	s_cbranch_execz .LBB69_14
; %bb.13:
	v_max_u32_e32 v2, 4, v0
	v_lshlrev_b32_e32 v48, 4, v2
	ds_read_b128 v[2:5], v48 offset:11200
	ds_read_b128 v[12:15], v48 offset:10176
	v_min_u32_e32 v30, 59, v0
	v_lshlrev_b32_e32 v49, 4, v30
	s_waitcnt lgkmcnt(1)
	v_mul_f64 v[10:11], v[4:5], v[4:5]
	v_fmac_f64_e32 v[10:11], v[2:3], v[2:3]
	v_div_scale_f64 v[6:7], s[4:5], v[10:11], v[10:11], 1.0
	v_rcp_f64_e32 v[8:9], v[6:7]
	v_div_scale_f64 v[16:17], vcc, 1.0, v[10:11], 1.0
	v_fma_f64 v[28:29], -v[6:7], v[8:9], 1.0
	v_fmac_f64_e32 v[8:9], v[8:9], v[28:29]
	v_fma_f64 v[28:29], -v[6:7], v[8:9], 1.0
	v_fmac_f64_e32 v[8:9], v[8:9], v[28:29]
	v_mul_f64 v[28:29], v[16:17], v[8:9]
	v_fma_f64 v[6:7], -v[6:7], v[28:29], v[16:17]
	v_div_fmas_f64 v[16:17], v[6:7], v[8:9], v[28:29]
	ds_read_b128 v[6:9], v26
	ds_read_b128 v[28:31], v25
	ds_read_b128 v[32:35], v49 offset:11328
	v_div_fixup_f64 v[10:11], v[16:17], v[10:11], 1.0
	ds_read_b128 v[36:39], v49 offset:10304
	s_waitcnt lgkmcnt(3)
	v_mul_f64 v[16:17], v[4:5], v[8:9]
	s_waitcnt lgkmcnt(1)
	v_mul_f64 v[40:41], v[34:35], v[34:35]
	v_fmac_f64_e32 v[40:41], v[32:33], v[32:33]
	v_div_scale_f64 v[42:43], s[4:5], v[40:41], v[40:41], 1.0
	v_rcp_f64_e32 v[44:45], v[42:43]
	v_mul_f64 v[4:5], v[4:5], -v[6:7]
	v_fmac_f64_e32 v[16:17], v[6:7], v[2:3]
	v_fmac_f64_e32 v[4:5], v[8:9], v[2:3]
	v_fma_f64 v[2:3], -v[42:43], v[44:45], 1.0
	v_fmac_f64_e32 v[44:45], v[44:45], v[2:3]
	v_fma_f64 v[2:3], -v[42:43], v[44:45], 1.0
	v_fmac_f64_e32 v[44:45], v[44:45], v[2:3]
	v_div_scale_f64 v[2:3], vcc, 1.0, v[40:41], 1.0
	v_mul_f64 v[46:47], v[10:11], v[4:5]
	v_mul_f64 v[4:5], v[2:3], v[44:45]
	v_fma_f64 v[2:3], -v[42:43], v[4:5], v[2:3]
	s_nop 0
	v_div_fmas_f64 v[2:3], v[2:3], v[44:45], v[4:5]
	v_div_fixup_f64 v[6:7], v[2:3], v[40:41], 1.0
	v_mul_f64 v[2:3], v[34:35], v[30:31]
	v_fmac_f64_e32 v[2:3], v[28:29], v[32:33]
	v_mul_f64 v[40:41], v[6:7], v[2:3]
	ds_read_b128 v[2:5], v48 offset:12224
	v_mul_f64 v[8:9], v[34:35], -v[28:29]
	v_fmac_f64_e32 v[8:9], v[30:31], v[32:33]
	ds_read_b128 v[28:31], v27
	ds_read_b128 v[32:35], v24
	v_mul_f64 v[16:17], v[10:11], v[16:17]
	v_mul_f64 v[42:43], v[6:7], v[8:9]
	ds_read_b128 v[6:9], v48 offset:14272
	s_waitcnt lgkmcnt(3)
	v_mul_f64 v[10:11], v[46:47], -v[4:5]
	v_fmac_f64_e32 v[10:11], v[2:3], v[16:17]
	v_mul_f64 v[2:3], v[46:47], v[2:3]
	v_fmac_f64_e32 v[2:3], v[4:5], v[16:17]
	s_waitcnt lgkmcnt(2)
	v_add_f64 v[4:5], v[28:29], -v[10:11]
	v_add_f64 v[10:11], v[30:31], -v[2:3]
	v_mul_f64 v[2:3], v[42:43], -v[38:39]
	v_mul_f64 v[28:29], v[42:43], v[36:37]
	v_fmac_f64_e32 v[2:3], v[36:37], v[40:41]
	v_fmac_f64_e32 v[28:29], v[38:39], v[40:41]
	v_add_f64 v[2:3], v[4:5], -v[2:3]
	v_add_f64 v[4:5], v[10:11], -v[28:29]
	ds_read_b128 v[28:31], v49 offset:14400
	s_waitcnt lgkmcnt(1)
	v_mul_f64 v[10:11], v[46:47], -v[8:9]
	v_fmac_f64_e32 v[10:11], v[6:7], v[16:17]
	v_mul_f64 v[6:7], v[46:47], v[6:7]
	v_fmac_f64_e32 v[6:7], v[8:9], v[16:17]
	v_add_f64 v[8:9], v[32:33], -v[10:11]
	v_add_f64 v[10:11], v[34:35], -v[6:7]
	ds_read_b128 v[32:35], v49 offset:12352
	s_waitcnt lgkmcnt(1)
	v_mul_f64 v[6:7], v[42:43], -v[30:31]
	v_fmac_f64_e32 v[6:7], v[28:29], v[40:41]
	v_mul_f64 v[28:29], v[42:43], v[28:29]
	v_fmac_f64_e32 v[28:29], v[30:31], v[40:41]
	v_add_f64 v[6:7], v[8:9], -v[6:7]
	v_add_f64 v[8:9], v[10:11], -v[28:29]
	v_mul_f64 v[10:11], v[46:47], v[14:15]
	v_fma_f64 v[10:11], -v[12:13], v[16:17], v[10:11]
	v_mul_f64 v[12:13], v[46:47], -v[12:13]
	v_fma_f64 v[12:13], -v[14:15], v[16:17], v[12:13]
	s_waitcnt lgkmcnt(0)
	v_mul_f64 v[14:15], v[42:43], v[34:35]
	v_mul_f64 v[16:17], v[42:43], -v[32:33]
	v_fma_f64 v[14:15], -v[32:33], v[40:41], v[14:15]
	v_fma_f64 v[16:17], -v[34:35], v[40:41], v[16:17]
.LBB69_14:
	s_or_b64 exec, exec, s[2:3]
	s_waitcnt lgkmcnt(0)
	; wave barrier
	s_and_saveexec_b64 s[2:3], s[0:1]
	s_cbranch_execz .LBB69_16
; %bb.15:
	ds_write_b128 v27, v[2:5]
	ds_write_b128 v24, v[6:9]
	;; [unrolled: 1-line block ×4, first 2 shown]
.LBB69_16:
	s_or_b64 exec, exec, s[2:3]
	s_waitcnt lgkmcnt(0)
	; wave barrier
	s_waitcnt lgkmcnt(0)
	s_and_saveexec_b64 s[2:3], s[0:1]
	s_cbranch_execz .LBB69_18
; %bb.17:
	v_max_u32_e32 v2, 8, v0
	v_lshlrev_b32_e32 v48, 4, v2
	ds_read_b128 v[2:5], v48 offset:11136
	ds_read_b128 v[12:15], v48 offset:10112
	v_min_u32_e32 v30, 55, v0
	v_lshlrev_b32_e32 v49, 4, v30
	s_waitcnt lgkmcnt(1)
	v_mul_f64 v[10:11], v[4:5], v[4:5]
	v_fmac_f64_e32 v[10:11], v[2:3], v[2:3]
	v_div_scale_f64 v[6:7], s[4:5], v[10:11], v[10:11], 1.0
	v_rcp_f64_e32 v[8:9], v[6:7]
	v_div_scale_f64 v[16:17], vcc, 1.0, v[10:11], 1.0
	v_fma_f64 v[28:29], -v[6:7], v[8:9], 1.0
	v_fmac_f64_e32 v[8:9], v[8:9], v[28:29]
	v_fma_f64 v[28:29], -v[6:7], v[8:9], 1.0
	v_fmac_f64_e32 v[8:9], v[8:9], v[28:29]
	v_mul_f64 v[28:29], v[16:17], v[8:9]
	v_fma_f64 v[6:7], -v[6:7], v[28:29], v[16:17]
	v_div_fmas_f64 v[16:17], v[6:7], v[8:9], v[28:29]
	ds_read_b128 v[6:9], v26
	ds_read_b128 v[28:31], v25
	ds_read_b128 v[32:35], v49 offset:11392
	v_div_fixup_f64 v[10:11], v[16:17], v[10:11], 1.0
	ds_read_b128 v[36:39], v49 offset:10368
	s_waitcnt lgkmcnt(3)
	v_mul_f64 v[16:17], v[4:5], v[8:9]
	s_waitcnt lgkmcnt(1)
	v_mul_f64 v[40:41], v[34:35], v[34:35]
	v_fmac_f64_e32 v[40:41], v[32:33], v[32:33]
	v_div_scale_f64 v[42:43], s[4:5], v[40:41], v[40:41], 1.0
	v_rcp_f64_e32 v[44:45], v[42:43]
	v_mul_f64 v[4:5], v[4:5], -v[6:7]
	v_fmac_f64_e32 v[16:17], v[6:7], v[2:3]
	v_fmac_f64_e32 v[4:5], v[8:9], v[2:3]
	v_fma_f64 v[2:3], -v[42:43], v[44:45], 1.0
	v_fmac_f64_e32 v[44:45], v[44:45], v[2:3]
	v_fma_f64 v[2:3], -v[42:43], v[44:45], 1.0
	v_fmac_f64_e32 v[44:45], v[44:45], v[2:3]
	v_div_scale_f64 v[2:3], vcc, 1.0, v[40:41], 1.0
	v_mul_f64 v[46:47], v[10:11], v[4:5]
	v_mul_f64 v[4:5], v[2:3], v[44:45]
	v_fma_f64 v[2:3], -v[42:43], v[4:5], v[2:3]
	s_nop 0
	v_div_fmas_f64 v[2:3], v[2:3], v[44:45], v[4:5]
	v_div_fixup_f64 v[6:7], v[2:3], v[40:41], 1.0
	v_mul_f64 v[2:3], v[34:35], v[30:31]
	v_fmac_f64_e32 v[2:3], v[28:29], v[32:33]
	v_mul_f64 v[40:41], v[6:7], v[2:3]
	ds_read_b128 v[2:5], v48 offset:12160
	v_mul_f64 v[8:9], v[34:35], -v[28:29]
	v_fmac_f64_e32 v[8:9], v[30:31], v[32:33]
	ds_read_b128 v[28:31], v27
	ds_read_b128 v[32:35], v24
	v_mul_f64 v[16:17], v[10:11], v[16:17]
	v_mul_f64 v[42:43], v[6:7], v[8:9]
	ds_read_b128 v[6:9], v48 offset:14208
	s_waitcnt lgkmcnt(3)
	v_mul_f64 v[10:11], v[46:47], -v[4:5]
	v_fmac_f64_e32 v[10:11], v[2:3], v[16:17]
	v_mul_f64 v[2:3], v[46:47], v[2:3]
	v_fmac_f64_e32 v[2:3], v[4:5], v[16:17]
	s_waitcnt lgkmcnt(2)
	v_add_f64 v[4:5], v[28:29], -v[10:11]
	v_add_f64 v[10:11], v[30:31], -v[2:3]
	v_mul_f64 v[2:3], v[42:43], -v[38:39]
	v_mul_f64 v[28:29], v[42:43], v[36:37]
	v_fmac_f64_e32 v[2:3], v[36:37], v[40:41]
	v_fmac_f64_e32 v[28:29], v[38:39], v[40:41]
	v_add_f64 v[2:3], v[4:5], -v[2:3]
	v_add_f64 v[4:5], v[10:11], -v[28:29]
	ds_read_b128 v[28:31], v49 offset:14464
	s_waitcnt lgkmcnt(1)
	v_mul_f64 v[10:11], v[46:47], -v[8:9]
	v_fmac_f64_e32 v[10:11], v[6:7], v[16:17]
	v_mul_f64 v[6:7], v[46:47], v[6:7]
	v_fmac_f64_e32 v[6:7], v[8:9], v[16:17]
	v_add_f64 v[8:9], v[32:33], -v[10:11]
	v_add_f64 v[10:11], v[34:35], -v[6:7]
	ds_read_b128 v[32:35], v49 offset:12416
	s_waitcnt lgkmcnt(1)
	v_mul_f64 v[6:7], v[42:43], -v[30:31]
	v_fmac_f64_e32 v[6:7], v[28:29], v[40:41]
	v_mul_f64 v[28:29], v[42:43], v[28:29]
	v_fmac_f64_e32 v[28:29], v[30:31], v[40:41]
	v_add_f64 v[6:7], v[8:9], -v[6:7]
	v_add_f64 v[8:9], v[10:11], -v[28:29]
	v_mul_f64 v[10:11], v[46:47], v[14:15]
	v_fma_f64 v[10:11], -v[12:13], v[16:17], v[10:11]
	v_mul_f64 v[12:13], v[46:47], -v[12:13]
	v_fma_f64 v[12:13], -v[14:15], v[16:17], v[12:13]
	s_waitcnt lgkmcnt(0)
	v_mul_f64 v[14:15], v[42:43], v[34:35]
	v_mul_f64 v[16:17], v[42:43], -v[32:33]
	v_fma_f64 v[14:15], -v[32:33], v[40:41], v[14:15]
	v_fma_f64 v[16:17], -v[34:35], v[40:41], v[16:17]
.LBB69_18:
	s_or_b64 exec, exec, s[2:3]
	s_waitcnt lgkmcnt(0)
	; wave barrier
	s_and_saveexec_b64 s[2:3], s[0:1]
	s_cbranch_execz .LBB69_20
; %bb.19:
	ds_write_b128 v27, v[2:5]
	ds_write_b128 v24, v[6:9]
	;; [unrolled: 1-line block ×4, first 2 shown]
.LBB69_20:
	s_or_b64 exec, exec, s[2:3]
	s_waitcnt lgkmcnt(0)
	; wave barrier
	s_waitcnt lgkmcnt(0)
	s_and_saveexec_b64 s[2:3], s[0:1]
	s_cbranch_execz .LBB69_22
; %bb.21:
	v_max_u32_e32 v2, 16, v0
	v_lshlrev_b32_e32 v48, 4, v2
	ds_read_b128 v[2:5], v48 offset:11008
	ds_read_b128 v[12:15], v48 offset:9984
	v_min_u32_e32 v30, 47, v0
	v_lshlrev_b32_e32 v49, 4, v30
	s_waitcnt lgkmcnt(1)
	v_mul_f64 v[10:11], v[4:5], v[4:5]
	v_fmac_f64_e32 v[10:11], v[2:3], v[2:3]
	v_div_scale_f64 v[6:7], s[4:5], v[10:11], v[10:11], 1.0
	v_rcp_f64_e32 v[8:9], v[6:7]
	v_div_scale_f64 v[16:17], vcc, 1.0, v[10:11], 1.0
	v_fma_f64 v[28:29], -v[6:7], v[8:9], 1.0
	v_fmac_f64_e32 v[8:9], v[8:9], v[28:29]
	v_fma_f64 v[28:29], -v[6:7], v[8:9], 1.0
	v_fmac_f64_e32 v[8:9], v[8:9], v[28:29]
	v_mul_f64 v[28:29], v[16:17], v[8:9]
	v_fma_f64 v[6:7], -v[6:7], v[28:29], v[16:17]
	v_div_fmas_f64 v[16:17], v[6:7], v[8:9], v[28:29]
	ds_read_b128 v[6:9], v26
	ds_read_b128 v[28:31], v25
	ds_read_b128 v[32:35], v49 offset:11520
	v_div_fixup_f64 v[10:11], v[16:17], v[10:11], 1.0
	ds_read_b128 v[36:39], v49 offset:10496
	s_waitcnt lgkmcnt(3)
	v_mul_f64 v[16:17], v[4:5], v[8:9]
	s_waitcnt lgkmcnt(1)
	v_mul_f64 v[40:41], v[34:35], v[34:35]
	v_fmac_f64_e32 v[40:41], v[32:33], v[32:33]
	v_div_scale_f64 v[42:43], s[4:5], v[40:41], v[40:41], 1.0
	v_rcp_f64_e32 v[44:45], v[42:43]
	v_mul_f64 v[4:5], v[4:5], -v[6:7]
	v_fmac_f64_e32 v[16:17], v[6:7], v[2:3]
	v_fmac_f64_e32 v[4:5], v[8:9], v[2:3]
	v_fma_f64 v[2:3], -v[42:43], v[44:45], 1.0
	v_fmac_f64_e32 v[44:45], v[44:45], v[2:3]
	v_fma_f64 v[2:3], -v[42:43], v[44:45], 1.0
	v_fmac_f64_e32 v[44:45], v[44:45], v[2:3]
	v_div_scale_f64 v[2:3], vcc, 1.0, v[40:41], 1.0
	v_mul_f64 v[46:47], v[10:11], v[4:5]
	v_mul_f64 v[4:5], v[2:3], v[44:45]
	v_fma_f64 v[2:3], -v[42:43], v[4:5], v[2:3]
	s_nop 0
	v_div_fmas_f64 v[2:3], v[2:3], v[44:45], v[4:5]
	v_div_fixup_f64 v[6:7], v[2:3], v[40:41], 1.0
	v_mul_f64 v[2:3], v[34:35], v[30:31]
	v_fmac_f64_e32 v[2:3], v[28:29], v[32:33]
	v_mul_f64 v[40:41], v[6:7], v[2:3]
	ds_read_b128 v[2:5], v48 offset:12032
	v_mul_f64 v[8:9], v[34:35], -v[28:29]
	v_fmac_f64_e32 v[8:9], v[30:31], v[32:33]
	ds_read_b128 v[28:31], v27
	ds_read_b128 v[32:35], v24
	v_mul_f64 v[16:17], v[10:11], v[16:17]
	v_mul_f64 v[42:43], v[6:7], v[8:9]
	ds_read_b128 v[6:9], v48 offset:14080
	s_waitcnt lgkmcnt(3)
	v_mul_f64 v[10:11], v[46:47], -v[4:5]
	v_fmac_f64_e32 v[10:11], v[2:3], v[16:17]
	v_mul_f64 v[2:3], v[46:47], v[2:3]
	v_fmac_f64_e32 v[2:3], v[4:5], v[16:17]
	s_waitcnt lgkmcnt(2)
	v_add_f64 v[4:5], v[28:29], -v[10:11]
	v_add_f64 v[10:11], v[30:31], -v[2:3]
	v_mul_f64 v[2:3], v[42:43], -v[38:39]
	v_mul_f64 v[28:29], v[42:43], v[36:37]
	v_fmac_f64_e32 v[2:3], v[36:37], v[40:41]
	v_fmac_f64_e32 v[28:29], v[38:39], v[40:41]
	v_add_f64 v[2:3], v[4:5], -v[2:3]
	v_add_f64 v[4:5], v[10:11], -v[28:29]
	ds_read_b128 v[28:31], v49 offset:14592
	s_waitcnt lgkmcnt(1)
	v_mul_f64 v[10:11], v[46:47], -v[8:9]
	v_fmac_f64_e32 v[10:11], v[6:7], v[16:17]
	v_mul_f64 v[6:7], v[46:47], v[6:7]
	v_fmac_f64_e32 v[6:7], v[8:9], v[16:17]
	v_add_f64 v[8:9], v[32:33], -v[10:11]
	v_add_f64 v[10:11], v[34:35], -v[6:7]
	ds_read_b128 v[32:35], v49 offset:12544
	s_waitcnt lgkmcnt(1)
	v_mul_f64 v[6:7], v[42:43], -v[30:31]
	v_fmac_f64_e32 v[6:7], v[28:29], v[40:41]
	v_mul_f64 v[28:29], v[42:43], v[28:29]
	v_fmac_f64_e32 v[28:29], v[30:31], v[40:41]
	v_add_f64 v[6:7], v[8:9], -v[6:7]
	v_add_f64 v[8:9], v[10:11], -v[28:29]
	v_mul_f64 v[10:11], v[46:47], v[14:15]
	v_fma_f64 v[10:11], -v[12:13], v[16:17], v[10:11]
	v_mul_f64 v[12:13], v[46:47], -v[12:13]
	v_fma_f64 v[12:13], -v[14:15], v[16:17], v[12:13]
	s_waitcnt lgkmcnt(0)
	v_mul_f64 v[14:15], v[42:43], v[34:35]
	v_mul_f64 v[16:17], v[42:43], -v[32:33]
	v_fma_f64 v[14:15], -v[32:33], v[40:41], v[14:15]
	v_fma_f64 v[16:17], -v[34:35], v[40:41], v[16:17]
.LBB69_22:
	s_or_b64 exec, exec, s[2:3]
	s_waitcnt lgkmcnt(0)
	; wave barrier
	s_and_saveexec_b64 s[2:3], s[0:1]
	s_cbranch_execz .LBB69_24
; %bb.23:
	ds_write_b128 v27, v[2:5]
	ds_write_b128 v24, v[6:9]
	ds_write_b128 v26, v[10:13]
	ds_write_b128 v25, v[14:17]
.LBB69_24:
	s_or_b64 exec, exec, s[2:3]
	v_cmp_gt_u32_e32 vcc, 32, v0
	s_waitcnt lgkmcnt(0)
	; wave barrier
	s_waitcnt lgkmcnt(0)
	s_and_saveexec_b64 s[2:3], vcc
	s_cbranch_execz .LBB69_26
; %bb.25:
	ds_read_b128 v[2:5], v27
	ds_read_b128 v[6:9], v27 offset:512
	ds_read_b128 v[10:13], v26 offset:512
	ds_read_b128 v[14:17], v25
	s_waitcnt lgkmcnt(2)
	v_mul_f64 v[28:29], v[4:5], v[6:7]
	v_mul_f64 v[26:27], v[4:5], -v[8:9]
	s_waitcnt lgkmcnt(0)
	v_mul_f64 v[32:33], v[12:13], v[14:15]
	v_fmac_f64_e32 v[28:29], v[8:9], v[2:3]
	v_mul_f64 v[30:31], v[12:13], -v[16:17]
	v_fmac_f64_e32 v[32:33], v[16:17], v[10:11]
	v_fmac_f64_e32 v[26:27], v[6:7], v[2:3]
	;; [unrolled: 1-line block ×3, first 2 shown]
	v_add_f64 v[32:33], v[28:29], -v[32:33]
	v_add_f64 v[30:31], v[26:27], -v[30:31]
	v_mul_f64 v[26:27], v[32:33], v[32:33]
	v_fmac_f64_e32 v[26:27], v[30:31], v[30:31]
	v_div_scale_f64 v[28:29], s[4:5], v[26:27], v[26:27], 1.0
	v_rcp_f64_e32 v[34:35], v[28:29]
	v_fma_f64 v[36:37], -v[28:29], v[34:35], 1.0
	v_fmac_f64_e32 v[34:35], v[34:35], v[36:37]
	v_fma_f64 v[36:37], -v[28:29], v[34:35], 1.0
	v_fmac_f64_e32 v[34:35], v[34:35], v[36:37]
	v_div_scale_f64 v[36:37], vcc, 1.0, v[26:27], 1.0
	v_mul_f64 v[38:39], v[36:37], v[34:35]
	v_fma_f64 v[28:29], -v[28:29], v[38:39], v[36:37]
	v_fma_f64 v[36:37], 0, v[32:33], v[30:31]
	s_nop 0
	v_div_fmas_f64 v[28:29], v[28:29], v[34:35], v[38:39]
	v_div_fixup_f64 v[34:35], v[28:29], v[26:27], 1.0
	ds_read_b128 v[26:29], v24
	v_fma_f64 v[30:31], v[30:31], 0, -v[32:33]
	v_mul_f64 v[36:37], v[36:37], v[34:35]
	v_mul_f64 v[34:35], v[30:31], v[34:35]
	ds_read_b128 v[30:33], v24 offset:512
	s_waitcnt lgkmcnt(1)
	v_mul_f64 v[24:25], v[28:29], -v[8:9]
	v_fmac_f64_e32 v[24:25], v[6:7], v[26:27]
	v_mul_f64 v[6:7], v[6:7], v[28:29]
	v_fmac_f64_e32 v[6:7], v[8:9], v[26:27]
	s_waitcnt lgkmcnt(0)
	v_mul_f64 v[8:9], v[32:33], -v[16:17]
	v_fmac_f64_e32 v[8:9], v[14:15], v[30:31]
	v_mul_f64 v[14:15], v[14:15], v[32:33]
	v_fmac_f64_e32 v[14:15], v[16:17], v[30:31]
	v_add_f64 v[14:15], v[6:7], -v[14:15]
	v_add_f64 v[8:9], v[24:25], -v[8:9]
	v_mul_f64 v[6:7], v[34:35], -v[14:15]
	v_fmac_f64_e32 v[6:7], v[8:9], v[36:37]
	v_mul_f64 v[8:9], v[34:35], v[8:9]
	v_fmac_f64_e32 v[8:9], v[14:15], v[36:37]
	ds_write_b128 v22, v[6:9] offset:13312
	v_mul_f64 v[6:7], v[4:5], -v[32:33]
	v_mul_f64 v[4:5], v[4:5], v[30:31]
	v_fmac_f64_e32 v[6:7], v[30:31], v[2:3]
	v_fmac_f64_e32 v[4:5], v[32:33], v[2:3]
	v_mul_f64 v[2:3], v[12:13], -v[28:29]
	v_mul_f64 v[8:9], v[12:13], v[26:27]
	v_fmac_f64_e32 v[2:3], v[26:27], v[10:11]
	v_fmac_f64_e32 v[8:9], v[28:29], v[10:11]
	v_add_f64 v[6:7], v[6:7], -v[2:3]
	v_add_f64 v[8:9], v[4:5], -v[8:9]
	v_mul_f64 v[2:3], v[34:35], -v[8:9]
	v_mul_f64 v[4:5], v[34:35], v[6:7]
	v_fmac_f64_e32 v[2:3], v[6:7], v[36:37]
	v_fmac_f64_e32 v[4:5], v[8:9], v[36:37]
	ds_write_b128 v22, v[2:5] offset:13824
.LBB69_26:
	s_or_b64 exec, exec, s[2:3]
	s_waitcnt lgkmcnt(0)
	; wave barrier
	s_waitcnt lgkmcnt(0)
	s_and_saveexec_b64 s[2:3], s[0:1]
	s_cbranch_execz .LBB69_28
; %bb.27:
	ds_read_b128 v[2:5], v22 offset:13312
	s_waitcnt lgkmcnt(0)
	ds_write_b128 v23, v[2:5] offset:6160
.LBB69_28:
	s_or_b64 exec, exec, s[2:3]
	s_waitcnt lgkmcnt(0)
	; wave barrier
	s_waitcnt lgkmcnt(0)
	s_and_saveexec_b64 s[2:3], s[0:1]
	s_cbranch_execz .LBB69_34
; %bb.29:
	v_cmp_ne_u32_e32 vcc, 0, v0
	v_lshlrev_b32_e32 v4, 4, v1
                                        ; implicit-def: $vgpr2_vgpr3
	s_and_saveexec_b64 s[0:1], vcc
	s_xor_b64 s[0:1], exec, s[0:1]
	s_cbranch_execz .LBB69_31
; %bb.30:
	ds_read_b128 v[0:3], v4
	ds_read_b128 v[6:9], v4 offset:6128
	ds_read_b128 v[10:13], v4 offset:4096
	;; [unrolled: 1-line block ×5, first 2 shown]
	s_waitcnt lgkmcnt(4)
	v_mul_f64 v[32:33], v[8:9], -v[2:3]
	v_fmac_f64_e32 v[32:33], v[0:1], v[6:7]
	v_mul_f64 v[0:1], v[8:9], v[0:1]
	v_fmac_f64_e32 v[0:1], v[2:3], v[6:7]
	s_waitcnt lgkmcnt(0)
	v_mul_f64 v[6:7], v[30:31], -v[12:13]
	v_fmac_f64_e32 v[6:7], v[10:11], v[28:29]
	v_mul_f64 v[8:9], v[30:31], v[10:11]
	v_mul_f64 v[10:11], v[16:17], v[16:17]
	v_fmac_f64_e32 v[10:11], v[14:15], v[14:15]
	v_add_f64 v[2:3], v[24:25], -v[32:33]
	v_div_scale_f64 v[24:25], s[4:5], v[10:11], v[10:11], 1.0
	v_add_f64 v[0:1], v[26:27], -v[0:1]
	v_rcp_f64_e32 v[26:27], v[24:25]
	v_fmac_f64_e32 v[8:9], v[12:13], v[28:29]
	v_add_f64 v[2:3], v[2:3], -v[6:7]
	v_add_f64 v[6:7], v[0:1], -v[8:9]
	v_fma_f64 v[0:1], -v[24:25], v[26:27], 1.0
	v_fmac_f64_e32 v[26:27], v[26:27], v[0:1]
	v_fma_f64 v[0:1], -v[24:25], v[26:27], 1.0
	v_fmac_f64_e32 v[26:27], v[26:27], v[0:1]
	v_div_scale_f64 v[0:1], vcc, 1.0, v[10:11], 1.0
	v_mul_f64 v[8:9], v[0:1], v[26:27]
	v_fma_f64 v[0:1], -v[24:25], v[8:9], v[0:1]
	s_nop 1
	v_div_fmas_f64 v[0:1], v[0:1], v[26:27], v[8:9]
	v_div_fixup_f64 v[8:9], v[0:1], v[10:11], 1.0
	v_mul_f64 v[0:1], v[6:7], v[16:17]
	v_fmac_f64_e32 v[0:1], v[2:3], v[14:15]
	v_mul_f64 v[2:3], v[16:17], -v[2:3]
	v_fmac_f64_e32 v[2:3], v[6:7], v[14:15]
	v_mul_f64 v[0:1], v[0:1], v[8:9]
	v_mul_f64 v[2:3], v[8:9], v[2:3]
.LBB69_31:
	s_andn2_saveexec_b64 s[0:1], s[0:1]
	s_cbranch_execz .LBB69_33
; %bb.32:
	ds_read_b128 v[0:3], v4 offset:6160
	ds_read_b128 v[6:9], v4 offset:4096
	;; [unrolled: 1-line block ×4, first 2 shown]
	s_waitcnt lgkmcnt(2)
	v_mul_f64 v[24:25], v[2:3], -v[8:9]
	v_mul_f64 v[2:3], v[2:3], v[6:7]
	v_fmac_f64_e32 v[24:25], v[6:7], v[0:1]
	s_waitcnt lgkmcnt(1)
	v_mul_f64 v[6:7], v[12:13], v[12:13]
	v_fmac_f64_e32 v[6:7], v[10:11], v[10:11]
	v_div_scale_f64 v[26:27], s[4:5], v[6:7], v[6:7], 1.0
	v_rcp_f64_e32 v[28:29], v[26:27]
	v_fmac_f64_e32 v[2:3], v[8:9], v[0:1]
	s_waitcnt lgkmcnt(0)
	v_add_f64 v[8:9], v[14:15], -v[24:25]
	v_add_f64 v[2:3], v[16:17], -v[2:3]
	v_fma_f64 v[0:1], -v[26:27], v[28:29], 1.0
	v_fmac_f64_e32 v[28:29], v[28:29], v[0:1]
	v_fma_f64 v[0:1], -v[26:27], v[28:29], 1.0
	v_fmac_f64_e32 v[28:29], v[28:29], v[0:1]
	v_div_scale_f64 v[0:1], vcc, 1.0, v[6:7], 1.0
	v_mul_f64 v[14:15], v[0:1], v[28:29]
	v_fma_f64 v[0:1], -v[26:27], v[14:15], v[0:1]
	s_nop 1
	v_div_fmas_f64 v[0:1], v[0:1], v[28:29], v[14:15]
	v_div_fixup_f64 v[6:7], v[0:1], v[6:7], 1.0
	v_mul_f64 v[0:1], v[2:3], v[12:13]
	v_fmac_f64_e32 v[0:1], v[8:9], v[10:11]
	v_mul_f64 v[8:9], v[12:13], -v[8:9]
	v_fmac_f64_e32 v[8:9], v[2:3], v[10:11]
	v_mul_f64 v[0:1], v[0:1], v[6:7]
	v_mul_f64 v[2:3], v[8:9], v[6:7]
.LBB69_33:
	s_or_b64 exec, exec, s[0:1]
	ds_write_b128 v4, v[0:3] offset:6144
.LBB69_34:
	s_or_b64 exec, exec, s[2:3]
	v_or_b32_e32 v0, 0x1800, v22
	v_or_b32_e32 v4, 0x1c00, v22
	s_waitcnt lgkmcnt(0)
	; wave barrier
	s_waitcnt lgkmcnt(0)
	ds_read2_b64 v[0:3], v0 offset1:1
	ds_read2_b64 v[4:7], v4 offset1:1
	s_waitcnt lgkmcnt(1)
	global_store_dwordx4 v[18:19], v[0:3], off
	s_waitcnt lgkmcnt(0)
	global_store_dwordx4 v[20:21], v[4:7], off
	s_endpgm
	.section	.rodata,"a",@progbits
	.p2align	6, 0x0
	.amdhsa_kernel _ZN9rocsparseL51gtsv_nopivot_strided_batch_crpcr_pow2_shared_kernelILj64ELj64E21rocsparse_complex_numIdEEEviiiPKT1_S5_S5_PS3_
		.amdhsa_group_segment_fixed_size 15360
		.amdhsa_private_segment_fixed_size 0
		.amdhsa_kernarg_size 48
		.amdhsa_user_sgpr_count 6
		.amdhsa_user_sgpr_private_segment_buffer 1
		.amdhsa_user_sgpr_dispatch_ptr 0
		.amdhsa_user_sgpr_queue_ptr 0
		.amdhsa_user_sgpr_kernarg_segment_ptr 1
		.amdhsa_user_sgpr_dispatch_id 0
		.amdhsa_user_sgpr_flat_scratch_init 0
		.amdhsa_user_sgpr_kernarg_preload_length 0
		.amdhsa_user_sgpr_kernarg_preload_offset 0
		.amdhsa_user_sgpr_private_segment_size 0
		.amdhsa_uses_dynamic_stack 0
		.amdhsa_system_sgpr_private_segment_wavefront_offset 0
		.amdhsa_system_sgpr_workgroup_id_x 1
		.amdhsa_system_sgpr_workgroup_id_y 0
		.amdhsa_system_sgpr_workgroup_id_z 0
		.amdhsa_system_sgpr_workgroup_info 0
		.amdhsa_system_vgpr_workitem_id 0
		.amdhsa_next_free_vgpr 51
		.amdhsa_next_free_sgpr 16
		.amdhsa_accum_offset 52
		.amdhsa_reserve_vcc 1
		.amdhsa_reserve_flat_scratch 0
		.amdhsa_float_round_mode_32 0
		.amdhsa_float_round_mode_16_64 0
		.amdhsa_float_denorm_mode_32 3
		.amdhsa_float_denorm_mode_16_64 3
		.amdhsa_dx10_clamp 1
		.amdhsa_ieee_mode 1
		.amdhsa_fp16_overflow 0
		.amdhsa_tg_split 0
		.amdhsa_exception_fp_ieee_invalid_op 0
		.amdhsa_exception_fp_denorm_src 0
		.amdhsa_exception_fp_ieee_div_zero 0
		.amdhsa_exception_fp_ieee_overflow 0
		.amdhsa_exception_fp_ieee_underflow 0
		.amdhsa_exception_fp_ieee_inexact 0
		.amdhsa_exception_int_div_zero 0
	.end_amdhsa_kernel
	.section	.text._ZN9rocsparseL51gtsv_nopivot_strided_batch_crpcr_pow2_shared_kernelILj64ELj64E21rocsparse_complex_numIdEEEviiiPKT1_S5_S5_PS3_,"axG",@progbits,_ZN9rocsparseL51gtsv_nopivot_strided_batch_crpcr_pow2_shared_kernelILj64ELj64E21rocsparse_complex_numIdEEEviiiPKT1_S5_S5_PS3_,comdat
.Lfunc_end69:
	.size	_ZN9rocsparseL51gtsv_nopivot_strided_batch_crpcr_pow2_shared_kernelILj64ELj64E21rocsparse_complex_numIdEEEviiiPKT1_S5_S5_PS3_, .Lfunc_end69-_ZN9rocsparseL51gtsv_nopivot_strided_batch_crpcr_pow2_shared_kernelILj64ELj64E21rocsparse_complex_numIdEEEviiiPKT1_S5_S5_PS3_
                                        ; -- End function
	.section	.AMDGPU.csdata,"",@progbits
; Kernel info:
; codeLenInByte = 5800
; NumSgprs: 20
; NumVgprs: 51
; NumAgprs: 0
; TotalNumVgprs: 51
; ScratchSize: 0
; MemoryBound: 0
; FloatMode: 240
; IeeeMode: 1
; LDSByteSize: 15360 bytes/workgroup (compile time only)
; SGPRBlocks: 2
; VGPRBlocks: 6
; NumSGPRsForWavesPerEU: 20
; NumVGPRsForWavesPerEU: 51
; AccumOffset: 52
; Occupancy: 1
; WaveLimiterHint : 0
; COMPUTE_PGM_RSRC2:SCRATCH_EN: 0
; COMPUTE_PGM_RSRC2:USER_SGPR: 6
; COMPUTE_PGM_RSRC2:TRAP_HANDLER: 0
; COMPUTE_PGM_RSRC2:TGID_X_EN: 1
; COMPUTE_PGM_RSRC2:TGID_Y_EN: 0
; COMPUTE_PGM_RSRC2:TGID_Z_EN: 0
; COMPUTE_PGM_RSRC2:TIDIG_COMP_CNT: 0
; COMPUTE_PGM_RSRC3_GFX90A:ACCUM_OFFSET: 12
; COMPUTE_PGM_RSRC3_GFX90A:TG_SPLIT: 0
	.section	.text._ZN9rocsparseL51gtsv_nopivot_strided_batch_crpcr_pow2_shared_kernelILj128ELj64E21rocsparse_complex_numIdEEEviiiPKT1_S5_S5_PS3_,"axG",@progbits,_ZN9rocsparseL51gtsv_nopivot_strided_batch_crpcr_pow2_shared_kernelILj128ELj64E21rocsparse_complex_numIdEEEviiiPKT1_S5_S5_PS3_,comdat
	.globl	_ZN9rocsparseL51gtsv_nopivot_strided_batch_crpcr_pow2_shared_kernelILj128ELj64E21rocsparse_complex_numIdEEEviiiPKT1_S5_S5_PS3_ ; -- Begin function _ZN9rocsparseL51gtsv_nopivot_strided_batch_crpcr_pow2_shared_kernelILj128ELj64E21rocsparse_complex_numIdEEEviiiPKT1_S5_S5_PS3_
	.p2align	8
	.type	_ZN9rocsparseL51gtsv_nopivot_strided_batch_crpcr_pow2_shared_kernelILj128ELj64E21rocsparse_complex_numIdEEEviiiPKT1_S5_S5_PS3_,@function
_ZN9rocsparseL51gtsv_nopivot_strided_batch_crpcr_pow2_shared_kernelILj128ELj64E21rocsparse_complex_numIdEEEviiiPKT1_S5_S5_PS3_: ; @_ZN9rocsparseL51gtsv_nopivot_strided_batch_crpcr_pow2_shared_kernelILj128ELj64E21rocsparse_complex_numIdEEEviiiPKT1_S5_S5_PS3_
; %bb.0:
	s_load_dword s0, s[4:5], 0x8
	s_load_dwordx8 s[8:15], s[4:5], 0x10
	v_lshlrev_b32_e32 v22, 4, v0
	v_or_b32_e32 v23, 0x2800, v22
	v_or_b32_e32 v44, 0x4000, v22
	s_waitcnt lgkmcnt(0)
	s_mul_i32 s6, s6, s0
	v_add_u32_e32 v2, s6, v0
	v_ashrrev_i32_e32 v3, 31, v2
	v_lshlrev_b64 v[4:5], 4, v[2:3]
	v_mov_b32_e32 v1, s9
	v_add_co_u32_e32 v14, vcc, s8, v4
	v_add_u32_e32 v2, 0x80, v2
	v_mov_b32_e32 v3, 0
	v_addc_co_u32_e32 v15, vcc, v1, v5, vcc
	v_lshlrev_b64 v[2:3], 4, v[2:3]
	v_add_co_u32_e32 v16, vcc, s8, v2
	v_addc_co_u32_e32 v17, vcc, v1, v3, vcc
	v_mov_b32_e32 v1, s11
	v_add_co_u32_e32 v18, vcc, s10, v4
	v_addc_co_u32_e32 v19, vcc, v1, v5, vcc
	v_add_co_u32_e32 v20, vcc, s10, v2
	v_addc_co_u32_e32 v21, vcc, v1, v3, vcc
	global_load_dwordx4 v[6:9], v[14:15], off
	global_load_dwordx4 v[10:13], v[16:17], off
	s_nop 0
	global_load_dwordx4 v[14:17], v[18:19], off
	global_load_dwordx4 v[24:27], v[20:21], off
	v_mov_b32_e32 v1, s13
	v_add_co_u32_e32 v18, vcc, s12, v4
	v_addc_co_u32_e32 v19, vcc, v1, v5, vcc
	v_add_co_u32_e32 v20, vcc, s12, v2
	v_addc_co_u32_e32 v21, vcc, v1, v3, vcc
	global_load_dwordx4 v[28:31], v[18:19], off
	global_load_dwordx4 v[32:35], v[20:21], off
	v_mov_b32_e32 v1, s15
	v_add_co_u32_e32 v18, vcc, s14, v4
	v_addc_co_u32_e32 v19, vcc, v1, v5, vcc
	v_add_co_u32_e32 v20, vcc, s14, v2
	v_addc_co_u32_e32 v21, vcc, v1, v3, vcc
	global_load_dwordx4 v[36:39], v[18:19], off
	global_load_dwordx4 v[40:43], v[20:21], off
	s_movk_i32 s0, 0x80
	v_add_u32_e32 v4, 1, v0
	v_cmp_gt_u32_e64 s[0:1], s0, v0
	v_or_b32_e32 v1, 0x800, v22
	v_or_b32_e32 v2, 0x1000, v22
	;; [unrolled: 1-line block ×5, first 2 shown]
	s_waitcnt vmcnt(7)
	ds_write2_b64 v22, v[6:7], v[8:9] offset1:1
	s_waitcnt vmcnt(6)
	ds_write2_b64 v1, v[10:11], v[12:13] offset1:1
	;; [unrolled: 2-line block ×8, first 2 shown]
	s_waitcnt lgkmcnt(0)
	s_barrier
	s_and_saveexec_b64 s[2:3], s[0:1]
	s_cbranch_execz .LBB70_2
; %bb.1:
	v_lshlrev_b32_e32 v1, 5, v4
	ds_read_b128 v[6:9], v1 offset:4064
	ds_read_b128 v[10:13], v1 offset:4080
	v_lshlrev_b32_e32 v5, 1, v4
	v_min_u32_e32 v5, 0xff, v5
	v_add_u32_e32 v23, -16, v1
	s_waitcnt lgkmcnt(1)
	v_mul_f64 v[2:3], v[8:9], v[8:9]
	v_fmac_f64_e32 v[2:3], v[6:7], v[6:7]
	v_div_scale_f64 v[14:15], s[4:5], v[2:3], v[2:3], 1.0
	v_rcp_f64_e32 v[16:17], v[14:15]
	v_subrev_u32_e32 v28, 32, v1
	v_lshlrev_b32_e32 v5, 4, v5
	v_fma_f64 v[24:25], -v[14:15], v[16:17], 1.0
	v_fmac_f64_e32 v[16:17], v[16:17], v[24:25]
	v_fma_f64 v[24:25], -v[14:15], v[16:17], 1.0
	v_fmac_f64_e32 v[16:17], v[16:17], v[24:25]
	v_div_scale_f64 v[24:25], vcc, 1.0, v[2:3], 1.0
	v_mul_f64 v[26:27], v[24:25], v[16:17]
	v_fma_f64 v[14:15], -v[14:15], v[26:27], v[24:25]
	s_nop 1
	v_div_fmas_f64 v[24:25], v[14:15], v[16:17], v[26:27]
	ds_read_b128 v[14:17], v23
	v_div_fixup_f64 v[2:3], v[24:25], v[2:3], 1.0
	ds_read_b128 v[24:27], v28
	ds_read_b128 v[28:31], v5 offset:4096
	s_waitcnt lgkmcnt(2)
	v_mul_f64 v[32:33], v[8:9], v[16:17]
	v_mul_f64 v[8:9], v[8:9], -v[14:15]
	s_waitcnt lgkmcnt(0)
	v_mul_f64 v[38:39], v[30:31], v[30:31]
	v_fmac_f64_e32 v[38:39], v[28:29], v[28:29]
	v_div_scale_f64 v[40:41], s[4:5], v[38:39], v[38:39], 1.0
	v_rcp_f64_e32 v[42:43], v[40:41]
	v_fmac_f64_e32 v[32:33], v[14:15], v[6:7]
	v_fmac_f64_e32 v[8:9], v[16:17], v[6:7]
	v_mul_f64 v[36:37], v[2:3], v[32:33]
	v_fma_f64 v[6:7], -v[40:41], v[42:43], 1.0
	v_fmac_f64_e32 v[42:43], v[42:43], v[6:7]
	v_fma_f64 v[6:7], -v[40:41], v[42:43], 1.0
	v_fmac_f64_e32 v[42:43], v[42:43], v[6:7]
	v_div_scale_f64 v[6:7], vcc, 1.0, v[38:39], 1.0
	v_mul_f64 v[14:15], v[6:7], v[42:43]
	v_mul_f64 v[2:3], v[2:3], v[8:9]
	v_fma_f64 v[16:17], -v[40:41], v[14:15], v[6:7]
	ds_read_b128 v[6:9], v1 offset:8176
	v_div_fmas_f64 v[14:15], v[16:17], v[42:43], v[14:15]
	v_div_fixup_f64 v[38:39], v[14:15], v[38:39], 1.0
	ds_read_b128 v[14:17], v1 offset:8160
	ds_read_b128 v[32:35], v5
	s_waitcnt lgkmcnt(2)
	v_mul_f64 v[40:41], v[30:31], v[8:9]
	v_fmac_f64_e32 v[40:41], v[6:7], v[28:29]
	v_mul_f64 v[6:7], v[30:31], -v[6:7]
	v_fmac_f64_e32 v[6:7], v[8:9], v[28:29]
	v_mul_f64 v[28:29], v[38:39], v[6:7]
	s_waitcnt lgkmcnt(1)
	v_mul_f64 v[6:7], v[2:3], -v[16:17]
	v_mul_f64 v[8:9], v[2:3], v[14:15]
	v_fmac_f64_e32 v[6:7], v[14:15], v[36:37]
	v_fmac_f64_e32 v[8:9], v[16:17], v[36:37]
	v_mul_f64 v[40:41], v[38:39], v[40:41]
	v_add_f64 v[10:11], v[10:11], -v[6:7]
	v_add_f64 v[12:13], v[12:13], -v[8:9]
	s_waitcnt lgkmcnt(0)
	v_mul_f64 v[14:15], v[28:29], -v[34:35]
	v_mul_f64 v[16:17], v[28:29], v[32:33]
	ds_read_b128 v[6:9], v1 offset:16352
	v_fmac_f64_e32 v[14:15], v[32:33], v[40:41]
	v_fmac_f64_e32 v[16:17], v[34:35], v[40:41]
	v_add_f64 v[10:11], v[10:11], -v[14:15]
	v_add_f64 v[12:13], v[12:13], -v[16:17]
	ds_write_b128 v1, v[10:13] offset:4080
	ds_read_b128 v[10:13], v1 offset:16368
	ds_read_b128 v[14:17], v5 offset:16384
	s_waitcnt lgkmcnt(3)
	v_mul_f64 v[30:31], v[2:3], -v[8:9]
	v_fmac_f64_e32 v[30:31], v[6:7], v[36:37]
	v_mul_f64 v[6:7], v[2:3], v[6:7]
	v_fmac_f64_e32 v[6:7], v[8:9], v[36:37]
	s_waitcnt lgkmcnt(1)
	v_add_f64 v[10:11], v[10:11], -v[30:31]
	v_add_f64 v[12:13], v[12:13], -v[6:7]
	ds_read_b128 v[6:9], v5 offset:8192
	s_waitcnt lgkmcnt(1)
	v_mul_f64 v[30:31], v[28:29], -v[16:17]
	v_fmac_f64_e32 v[30:31], v[14:15], v[40:41]
	v_mul_f64 v[14:15], v[28:29], v[14:15]
	v_fmac_f64_e32 v[14:15], v[16:17], v[40:41]
	v_add_f64 v[10:11], v[10:11], -v[30:31]
	v_add_f64 v[12:13], v[12:13], -v[14:15]
	ds_write_b128 v1, v[10:13] offset:16368
	v_mul_f64 v[10:11], v[2:3], v[26:27]
	v_mul_f64 v[2:3], v[2:3], -v[24:25]
	v_fma_f64 v[10:11], -v[24:25], v[36:37], v[10:11]
	v_fma_f64 v[12:13], -v[26:27], v[36:37], v[2:3]
	s_waitcnt lgkmcnt(1)
	v_mul_f64 v[2:3], v[28:29], v[8:9]
	ds_write_b128 v23, v[10:13]
	v_fma_f64 v[10:11], -v[6:7], v[40:41], v[2:3]
	v_mul_f64 v[2:3], v[28:29], -v[6:7]
	v_fma_f64 v[12:13], -v[8:9], v[40:41], v[2:3]
	ds_write_b128 v1, v[10:13] offset:8176
.LBB70_2:
	s_or_b64 exec, exec, s[2:3]
	v_cmp_gt_u32_e64 s[2:3], 64, v0
	v_lshlrev_b32_e32 v1, 6, v4
	s_waitcnt lgkmcnt(0)
	s_barrier
	s_and_saveexec_b64 s[4:5], s[2:3]
	s_cbranch_execz .LBB70_4
; %bb.3:
	ds_read_b128 v[6:9], v1 offset:4048
	ds_read_b128 v[10:13], v1 offset:4080
	v_lshl_or_b32 v5, v4, 2, 1
	v_add_u32_e32 v23, -16, v1
	v_subrev_u32_e32 v28, 48, v1
	s_waitcnt lgkmcnt(1)
	v_mul_f64 v[2:3], v[8:9], v[8:9]
	v_fmac_f64_e32 v[2:3], v[6:7], v[6:7]
	v_div_scale_f64 v[14:15], s[6:7], v[2:3], v[2:3], 1.0
	v_rcp_f64_e32 v[16:17], v[14:15]
	v_min_u32_e32 v5, 0xff, v5
	v_lshlrev_b32_e32 v5, 4, v5
	v_fma_f64 v[24:25], -v[14:15], v[16:17], 1.0
	v_fmac_f64_e32 v[16:17], v[16:17], v[24:25]
	v_fma_f64 v[24:25], -v[14:15], v[16:17], 1.0
	v_fmac_f64_e32 v[16:17], v[16:17], v[24:25]
	v_div_scale_f64 v[24:25], vcc, 1.0, v[2:3], 1.0
	v_mul_f64 v[26:27], v[24:25], v[16:17]
	v_fma_f64 v[14:15], -v[14:15], v[26:27], v[24:25]
	s_nop 1
	v_div_fmas_f64 v[24:25], v[14:15], v[16:17], v[26:27]
	ds_read_b128 v[14:17], v23
	v_div_fixup_f64 v[2:3], v[24:25], v[2:3], 1.0
	ds_read_b128 v[24:27], v28
	ds_read_b128 v[28:31], v5 offset:4096
	s_waitcnt lgkmcnt(2)
	v_mul_f64 v[32:33], v[8:9], v[16:17]
	v_mul_f64 v[8:9], v[8:9], -v[14:15]
	s_waitcnt lgkmcnt(0)
	v_mul_f64 v[38:39], v[30:31], v[30:31]
	v_fmac_f64_e32 v[38:39], v[28:29], v[28:29]
	v_div_scale_f64 v[40:41], s[6:7], v[38:39], v[38:39], 1.0
	v_rcp_f64_e32 v[42:43], v[40:41]
	v_fmac_f64_e32 v[32:33], v[14:15], v[6:7]
	v_fmac_f64_e32 v[8:9], v[16:17], v[6:7]
	v_mul_f64 v[36:37], v[2:3], v[32:33]
	v_fma_f64 v[6:7], -v[40:41], v[42:43], 1.0
	v_fmac_f64_e32 v[42:43], v[42:43], v[6:7]
	v_fma_f64 v[6:7], -v[40:41], v[42:43], 1.0
	v_fmac_f64_e32 v[42:43], v[42:43], v[6:7]
	v_div_scale_f64 v[6:7], vcc, 1.0, v[38:39], 1.0
	v_mul_f64 v[14:15], v[6:7], v[42:43]
	v_mul_f64 v[2:3], v[2:3], v[8:9]
	v_fma_f64 v[16:17], -v[40:41], v[14:15], v[6:7]
	ds_read_b128 v[6:9], v1 offset:8176
	v_div_fmas_f64 v[14:15], v[16:17], v[42:43], v[14:15]
	v_div_fixup_f64 v[38:39], v[14:15], v[38:39], 1.0
	ds_read_b128 v[14:17], v1 offset:8144
	ds_read_b128 v[32:35], v5
	s_waitcnt lgkmcnt(2)
	v_mul_f64 v[40:41], v[30:31], v[8:9]
	v_fmac_f64_e32 v[40:41], v[6:7], v[28:29]
	v_mul_f64 v[6:7], v[30:31], -v[6:7]
	v_fmac_f64_e32 v[6:7], v[8:9], v[28:29]
	v_mul_f64 v[28:29], v[38:39], v[6:7]
	s_waitcnt lgkmcnt(1)
	v_mul_f64 v[6:7], v[2:3], -v[16:17]
	v_mul_f64 v[8:9], v[2:3], v[14:15]
	v_fmac_f64_e32 v[6:7], v[14:15], v[36:37]
	v_fmac_f64_e32 v[8:9], v[16:17], v[36:37]
	v_mul_f64 v[40:41], v[38:39], v[40:41]
	v_add_f64 v[10:11], v[10:11], -v[6:7]
	v_add_f64 v[12:13], v[12:13], -v[8:9]
	s_waitcnt lgkmcnt(0)
	v_mul_f64 v[14:15], v[28:29], -v[34:35]
	v_mul_f64 v[16:17], v[28:29], v[32:33]
	ds_read_b128 v[6:9], v1 offset:16336
	v_fmac_f64_e32 v[14:15], v[32:33], v[40:41]
	v_fmac_f64_e32 v[16:17], v[34:35], v[40:41]
	v_add_f64 v[10:11], v[10:11], -v[14:15]
	v_add_f64 v[12:13], v[12:13], -v[16:17]
	ds_write_b128 v1, v[10:13] offset:4080
	ds_read_b128 v[10:13], v1 offset:16368
	ds_read_b128 v[14:17], v5 offset:16384
	s_waitcnt lgkmcnt(3)
	v_mul_f64 v[30:31], v[2:3], -v[8:9]
	v_fmac_f64_e32 v[30:31], v[6:7], v[36:37]
	v_mul_f64 v[6:7], v[2:3], v[6:7]
	v_fmac_f64_e32 v[6:7], v[8:9], v[36:37]
	s_waitcnt lgkmcnt(1)
	v_add_f64 v[10:11], v[10:11], -v[30:31]
	v_add_f64 v[12:13], v[12:13], -v[6:7]
	ds_read_b128 v[6:9], v5 offset:8192
	s_waitcnt lgkmcnt(1)
	v_mul_f64 v[30:31], v[28:29], -v[16:17]
	v_fmac_f64_e32 v[30:31], v[14:15], v[40:41]
	v_mul_f64 v[14:15], v[28:29], v[14:15]
	v_fmac_f64_e32 v[14:15], v[16:17], v[40:41]
	v_add_f64 v[10:11], v[10:11], -v[30:31]
	v_add_f64 v[12:13], v[12:13], -v[14:15]
	ds_write_b128 v1, v[10:13] offset:16368
	v_mul_f64 v[10:11], v[2:3], v[26:27]
	v_mul_f64 v[2:3], v[2:3], -v[24:25]
	v_fma_f64 v[10:11], -v[24:25], v[36:37], v[10:11]
	v_fma_f64 v[12:13], -v[26:27], v[36:37], v[2:3]
	s_waitcnt lgkmcnt(1)
	v_mul_f64 v[2:3], v[28:29], v[8:9]
	ds_write_b128 v23, v[10:13]
	v_fma_f64 v[10:11], -v[6:7], v[40:41], v[2:3]
	v_mul_f64 v[2:3], v[28:29], -v[6:7]
	v_fma_f64 v[12:13], -v[8:9], v[40:41], v[2:3]
	ds_write_b128 v1, v[10:13] offset:8176
.LBB70_4:
	s_or_b64 exec, exec, s[4:5]
	s_waitcnt lgkmcnt(0)
	s_barrier
	s_and_saveexec_b64 s[4:5], s[2:3]
	s_cbranch_execz .LBB70_6
; %bb.5:
	v_add_u32_e32 v2, -16, v1
	ds_read_b128 v[6:9], v2
	ds_read_b128 v[10:13], v1 offset:4080
	ds_read_b128 v[14:17], v1 offset:8176
	;; [unrolled: 1-line block ×3, first 2 shown]
	s_waitcnt lgkmcnt(3)
	ds_write_b128 v22, v[6:9] offset:20480
	s_waitcnt lgkmcnt(3)
	ds_write_b128 v22, v[10:13] offset:21504
	;; [unrolled: 2-line block ×4, first 2 shown]
.LBB70_6:
	s_or_b64 exec, exec, s[4:5]
	v_or_b32_e32 v25, 0x5000, v22
	v_or_b32_e32 v24, 0x5800, v22
	v_add_u32_e32 v26, 0x5400, v22
	v_or_b32_e32 v23, 0x6000, v22
	s_waitcnt lgkmcnt(0)
	s_barrier
	s_waitcnt lgkmcnt(0)
                                        ; implicit-def: $vgpr6_vgpr7
                                        ; implicit-def: $vgpr14_vgpr15
                                        ; implicit-def: $vgpr2_vgpr3
                                        ; implicit-def: $vgpr10_vgpr11
	s_and_saveexec_b64 s[4:5], s[2:3]
	s_cbranch_execz .LBB70_8
; %bb.7:
	v_max_u32_e32 v2, 1, v0
	v_lshlrev_b32_e32 v27, 4, v2
	ds_read_b128 v[6:9], v27 offset:21488
	ds_read_b128 v[12:15], v27 offset:20464
	v_min_u32_e32 v30, 63, v4
	v_lshlrev_b32_e32 v48, 4, v30
	s_waitcnt lgkmcnt(1)
	v_mul_f64 v[10:11], v[8:9], v[8:9]
	v_fmac_f64_e32 v[10:11], v[6:7], v[6:7]
	v_div_scale_f64 v[2:3], s[6:7], v[10:11], v[10:11], 1.0
	v_rcp_f64_e32 v[16:17], v[2:3]
	v_div_scale_f64 v[4:5], vcc, 1.0, v[10:11], 1.0
	v_fma_f64 v[28:29], -v[2:3], v[16:17], 1.0
	v_fmac_f64_e32 v[16:17], v[16:17], v[28:29]
	v_fma_f64 v[28:29], -v[2:3], v[16:17], 1.0
	v_fmac_f64_e32 v[16:17], v[16:17], v[28:29]
	v_mul_f64 v[28:29], v[4:5], v[16:17]
	v_fma_f64 v[2:3], -v[2:3], v[28:29], v[4:5]
	v_div_fmas_f64 v[16:17], v[2:3], v[16:17], v[28:29]
	ds_read_b128 v[2:5], v25
	ds_read_b128 v[28:31], v24
	ds_read_b128 v[32:35], v48 offset:21504
	v_div_fixup_f64 v[10:11], v[16:17], v[10:11], 1.0
	ds_read_b128 v[36:39], v48 offset:20480
	s_waitcnt lgkmcnt(3)
	v_mul_f64 v[16:17], v[8:9], v[4:5]
	s_waitcnt lgkmcnt(1)
	v_mul_f64 v[40:41], v[34:35], v[34:35]
	v_fmac_f64_e32 v[40:41], v[32:33], v[32:33]
	v_div_scale_f64 v[42:43], s[6:7], v[40:41], v[40:41], 1.0
	v_rcp_f64_e32 v[44:45], v[42:43]
	v_fmac_f64_e32 v[16:17], v[2:3], v[6:7]
	v_mul_f64 v[2:3], v[8:9], -v[2:3]
	v_fmac_f64_e32 v[2:3], v[4:5], v[6:7]
	v_mul_f64 v[46:47], v[10:11], v[2:3]
	v_fma_f64 v[2:3], -v[42:43], v[44:45], 1.0
	v_fmac_f64_e32 v[44:45], v[44:45], v[2:3]
	v_fma_f64 v[2:3], -v[42:43], v[44:45], 1.0
	v_fmac_f64_e32 v[44:45], v[44:45], v[2:3]
	v_div_scale_f64 v[2:3], vcc, 1.0, v[40:41], 1.0
	v_mul_f64 v[4:5], v[2:3], v[44:45]
	v_fma_f64 v[2:3], -v[42:43], v[4:5], v[2:3]
	v_mul_f64 v[8:9], v[34:35], -v[28:29]
	s_nop 0
	v_div_fmas_f64 v[2:3], v[2:3], v[44:45], v[4:5]
	v_div_fixup_f64 v[6:7], v[2:3], v[40:41], 1.0
	v_mul_f64 v[2:3], v[34:35], v[30:31]
	v_fmac_f64_e32 v[2:3], v[28:29], v[32:33]
	v_mul_f64 v[40:41], v[6:7], v[2:3]
	ds_read_b128 v[2:5], v27 offset:22512
	v_fmac_f64_e32 v[8:9], v[30:31], v[32:33]
	ds_read_b128 v[28:31], v26
	ds_read_b128 v[32:35], v23
	v_mul_f64 v[16:17], v[10:11], v[16:17]
	v_mul_f64 v[42:43], v[6:7], v[8:9]
	ds_read_b128 v[6:9], v27 offset:24560
	s_waitcnt lgkmcnt(3)
	v_mul_f64 v[10:11], v[46:47], -v[4:5]
	v_fmac_f64_e32 v[10:11], v[2:3], v[16:17]
	v_mul_f64 v[2:3], v[46:47], v[2:3]
	v_fmac_f64_e32 v[2:3], v[4:5], v[16:17]
	s_waitcnt lgkmcnt(2)
	v_add_f64 v[4:5], v[28:29], -v[10:11]
	v_add_f64 v[10:11], v[30:31], -v[2:3]
	v_mul_f64 v[2:3], v[42:43], -v[38:39]
	v_mul_f64 v[28:29], v[42:43], v[36:37]
	v_fmac_f64_e32 v[2:3], v[36:37], v[40:41]
	v_fmac_f64_e32 v[28:29], v[38:39], v[40:41]
	v_add_f64 v[2:3], v[4:5], -v[2:3]
	v_add_f64 v[4:5], v[10:11], -v[28:29]
	ds_read_b128 v[28:31], v48 offset:24576
	s_waitcnt lgkmcnt(1)
	v_mul_f64 v[10:11], v[46:47], -v[8:9]
	v_fmac_f64_e32 v[10:11], v[6:7], v[16:17]
	v_mul_f64 v[6:7], v[46:47], v[6:7]
	v_fmac_f64_e32 v[6:7], v[8:9], v[16:17]
	v_add_f64 v[8:9], v[32:33], -v[10:11]
	v_add_f64 v[10:11], v[34:35], -v[6:7]
	ds_read_b128 v[32:35], v48 offset:22528
	s_waitcnt lgkmcnt(1)
	v_mul_f64 v[6:7], v[42:43], -v[30:31]
	v_fmac_f64_e32 v[6:7], v[28:29], v[40:41]
	v_mul_f64 v[28:29], v[42:43], v[28:29]
	v_fmac_f64_e32 v[28:29], v[30:31], v[40:41]
	v_add_f64 v[6:7], v[8:9], -v[6:7]
	v_add_f64 v[8:9], v[10:11], -v[28:29]
	v_mul_f64 v[10:11], v[46:47], v[14:15]
	v_fma_f64 v[10:11], -v[12:13], v[16:17], v[10:11]
	v_mul_f64 v[12:13], v[46:47], -v[12:13]
	v_fma_f64 v[12:13], -v[14:15], v[16:17], v[12:13]
	s_waitcnt lgkmcnt(0)
	v_mul_f64 v[14:15], v[42:43], v[34:35]
	v_mul_f64 v[16:17], v[42:43], -v[32:33]
	v_fma_f64 v[14:15], -v[32:33], v[40:41], v[14:15]
	v_fma_f64 v[16:17], -v[34:35], v[40:41], v[16:17]
.LBB70_8:
	s_or_b64 exec, exec, s[4:5]
	s_barrier
	s_and_saveexec_b64 s[4:5], s[2:3]
	s_cbranch_execz .LBB70_10
; %bb.9:
	ds_write_b128 v26, v[2:5]
	ds_write_b128 v23, v[6:9]
	;; [unrolled: 1-line block ×4, first 2 shown]
.LBB70_10:
	s_or_b64 exec, exec, s[4:5]
	s_waitcnt lgkmcnt(0)
	s_barrier
	s_and_saveexec_b64 s[4:5], s[2:3]
	s_cbranch_execz .LBB70_12
; %bb.11:
	v_max_u32_e32 v2, 2, v0
	v_lshlrev_b32_e32 v27, 4, v2
	ds_read_b128 v[2:5], v27 offset:21472
	ds_read_b128 v[12:15], v27 offset:20448
	v_min_u32_e32 v30, 61, v0
	v_lshlrev_b32_e32 v48, 4, v30
	s_waitcnt lgkmcnt(1)
	v_mul_f64 v[10:11], v[4:5], v[4:5]
	v_fmac_f64_e32 v[10:11], v[2:3], v[2:3]
	v_div_scale_f64 v[6:7], s[6:7], v[10:11], v[10:11], 1.0
	v_rcp_f64_e32 v[8:9], v[6:7]
	v_div_scale_f64 v[16:17], vcc, 1.0, v[10:11], 1.0
	v_fma_f64 v[28:29], -v[6:7], v[8:9], 1.0
	v_fmac_f64_e32 v[8:9], v[8:9], v[28:29]
	v_fma_f64 v[28:29], -v[6:7], v[8:9], 1.0
	v_fmac_f64_e32 v[8:9], v[8:9], v[28:29]
	v_mul_f64 v[28:29], v[16:17], v[8:9]
	v_fma_f64 v[6:7], -v[6:7], v[28:29], v[16:17]
	v_div_fmas_f64 v[16:17], v[6:7], v[8:9], v[28:29]
	ds_read_b128 v[6:9], v25
	ds_read_b128 v[28:31], v24
	ds_read_b128 v[32:35], v48 offset:21536
	v_div_fixup_f64 v[10:11], v[16:17], v[10:11], 1.0
	ds_read_b128 v[36:39], v48 offset:20512
	s_waitcnt lgkmcnt(3)
	v_mul_f64 v[16:17], v[4:5], v[8:9]
	s_waitcnt lgkmcnt(1)
	v_mul_f64 v[40:41], v[34:35], v[34:35]
	v_fmac_f64_e32 v[40:41], v[32:33], v[32:33]
	v_div_scale_f64 v[42:43], s[6:7], v[40:41], v[40:41], 1.0
	v_rcp_f64_e32 v[44:45], v[42:43]
	v_mul_f64 v[4:5], v[4:5], -v[6:7]
	v_fmac_f64_e32 v[16:17], v[6:7], v[2:3]
	v_fmac_f64_e32 v[4:5], v[8:9], v[2:3]
	v_fma_f64 v[2:3], -v[42:43], v[44:45], 1.0
	v_fmac_f64_e32 v[44:45], v[44:45], v[2:3]
	v_fma_f64 v[2:3], -v[42:43], v[44:45], 1.0
	v_fmac_f64_e32 v[44:45], v[44:45], v[2:3]
	v_div_scale_f64 v[2:3], vcc, 1.0, v[40:41], 1.0
	v_mul_f64 v[46:47], v[10:11], v[4:5]
	v_mul_f64 v[4:5], v[2:3], v[44:45]
	v_fma_f64 v[2:3], -v[42:43], v[4:5], v[2:3]
	s_nop 0
	v_div_fmas_f64 v[2:3], v[2:3], v[44:45], v[4:5]
	v_div_fixup_f64 v[6:7], v[2:3], v[40:41], 1.0
	v_mul_f64 v[2:3], v[34:35], v[30:31]
	v_fmac_f64_e32 v[2:3], v[28:29], v[32:33]
	v_mul_f64 v[40:41], v[6:7], v[2:3]
	ds_read_b128 v[2:5], v27 offset:22496
	v_mul_f64 v[8:9], v[34:35], -v[28:29]
	v_fmac_f64_e32 v[8:9], v[30:31], v[32:33]
	ds_read_b128 v[28:31], v26
	ds_read_b128 v[32:35], v23
	v_mul_f64 v[16:17], v[10:11], v[16:17]
	v_mul_f64 v[42:43], v[6:7], v[8:9]
	ds_read_b128 v[6:9], v27 offset:24544
	s_waitcnt lgkmcnt(3)
	v_mul_f64 v[10:11], v[46:47], -v[4:5]
	v_fmac_f64_e32 v[10:11], v[2:3], v[16:17]
	v_mul_f64 v[2:3], v[46:47], v[2:3]
	v_fmac_f64_e32 v[2:3], v[4:5], v[16:17]
	s_waitcnt lgkmcnt(2)
	v_add_f64 v[4:5], v[28:29], -v[10:11]
	v_add_f64 v[10:11], v[30:31], -v[2:3]
	v_mul_f64 v[2:3], v[42:43], -v[38:39]
	v_mul_f64 v[28:29], v[42:43], v[36:37]
	v_fmac_f64_e32 v[2:3], v[36:37], v[40:41]
	v_fmac_f64_e32 v[28:29], v[38:39], v[40:41]
	v_add_f64 v[2:3], v[4:5], -v[2:3]
	v_add_f64 v[4:5], v[10:11], -v[28:29]
	ds_read_b128 v[28:31], v48 offset:24608
	s_waitcnt lgkmcnt(1)
	v_mul_f64 v[10:11], v[46:47], -v[8:9]
	v_fmac_f64_e32 v[10:11], v[6:7], v[16:17]
	v_mul_f64 v[6:7], v[46:47], v[6:7]
	v_fmac_f64_e32 v[6:7], v[8:9], v[16:17]
	v_add_f64 v[8:9], v[32:33], -v[10:11]
	v_add_f64 v[10:11], v[34:35], -v[6:7]
	ds_read_b128 v[32:35], v48 offset:22560
	s_waitcnt lgkmcnt(1)
	v_mul_f64 v[6:7], v[42:43], -v[30:31]
	v_fmac_f64_e32 v[6:7], v[28:29], v[40:41]
	v_mul_f64 v[28:29], v[42:43], v[28:29]
	v_fmac_f64_e32 v[28:29], v[30:31], v[40:41]
	v_add_f64 v[6:7], v[8:9], -v[6:7]
	v_add_f64 v[8:9], v[10:11], -v[28:29]
	v_mul_f64 v[10:11], v[46:47], v[14:15]
	v_fma_f64 v[10:11], -v[12:13], v[16:17], v[10:11]
	v_mul_f64 v[12:13], v[46:47], -v[12:13]
	v_fma_f64 v[12:13], -v[14:15], v[16:17], v[12:13]
	s_waitcnt lgkmcnt(0)
	v_mul_f64 v[14:15], v[42:43], v[34:35]
	v_mul_f64 v[16:17], v[42:43], -v[32:33]
	v_fma_f64 v[14:15], -v[32:33], v[40:41], v[14:15]
	v_fma_f64 v[16:17], -v[34:35], v[40:41], v[16:17]
.LBB70_12:
	s_or_b64 exec, exec, s[4:5]
	s_barrier
	s_and_saveexec_b64 s[4:5], s[2:3]
	s_cbranch_execz .LBB70_14
; %bb.13:
	ds_write_b128 v26, v[2:5]
	ds_write_b128 v23, v[6:9]
	;; [unrolled: 1-line block ×4, first 2 shown]
.LBB70_14:
	s_or_b64 exec, exec, s[4:5]
	s_waitcnt lgkmcnt(0)
	s_barrier
	s_and_saveexec_b64 s[4:5], s[2:3]
	s_cbranch_execz .LBB70_16
; %bb.15:
	v_max_u32_e32 v2, 4, v0
	v_lshlrev_b32_e32 v27, 4, v2
	ds_read_b128 v[2:5], v27 offset:21440
	ds_read_b128 v[12:15], v27 offset:20416
	v_min_u32_e32 v30, 59, v0
	v_lshlrev_b32_e32 v48, 4, v30
	s_waitcnt lgkmcnt(1)
	v_mul_f64 v[10:11], v[4:5], v[4:5]
	v_fmac_f64_e32 v[10:11], v[2:3], v[2:3]
	v_div_scale_f64 v[6:7], s[6:7], v[10:11], v[10:11], 1.0
	v_rcp_f64_e32 v[8:9], v[6:7]
	v_div_scale_f64 v[16:17], vcc, 1.0, v[10:11], 1.0
	v_fma_f64 v[28:29], -v[6:7], v[8:9], 1.0
	v_fmac_f64_e32 v[8:9], v[8:9], v[28:29]
	v_fma_f64 v[28:29], -v[6:7], v[8:9], 1.0
	v_fmac_f64_e32 v[8:9], v[8:9], v[28:29]
	v_mul_f64 v[28:29], v[16:17], v[8:9]
	v_fma_f64 v[6:7], -v[6:7], v[28:29], v[16:17]
	v_div_fmas_f64 v[16:17], v[6:7], v[8:9], v[28:29]
	ds_read_b128 v[6:9], v25
	ds_read_b128 v[28:31], v24
	ds_read_b128 v[32:35], v48 offset:21568
	v_div_fixup_f64 v[10:11], v[16:17], v[10:11], 1.0
	ds_read_b128 v[36:39], v48 offset:20544
	s_waitcnt lgkmcnt(3)
	v_mul_f64 v[16:17], v[4:5], v[8:9]
	s_waitcnt lgkmcnt(1)
	v_mul_f64 v[40:41], v[34:35], v[34:35]
	v_fmac_f64_e32 v[40:41], v[32:33], v[32:33]
	v_div_scale_f64 v[42:43], s[6:7], v[40:41], v[40:41], 1.0
	v_rcp_f64_e32 v[44:45], v[42:43]
	v_mul_f64 v[4:5], v[4:5], -v[6:7]
	v_fmac_f64_e32 v[16:17], v[6:7], v[2:3]
	v_fmac_f64_e32 v[4:5], v[8:9], v[2:3]
	v_fma_f64 v[2:3], -v[42:43], v[44:45], 1.0
	v_fmac_f64_e32 v[44:45], v[44:45], v[2:3]
	v_fma_f64 v[2:3], -v[42:43], v[44:45], 1.0
	v_fmac_f64_e32 v[44:45], v[44:45], v[2:3]
	v_div_scale_f64 v[2:3], vcc, 1.0, v[40:41], 1.0
	v_mul_f64 v[46:47], v[10:11], v[4:5]
	v_mul_f64 v[4:5], v[2:3], v[44:45]
	v_fma_f64 v[2:3], -v[42:43], v[4:5], v[2:3]
	s_nop 0
	v_div_fmas_f64 v[2:3], v[2:3], v[44:45], v[4:5]
	v_div_fixup_f64 v[6:7], v[2:3], v[40:41], 1.0
	v_mul_f64 v[2:3], v[34:35], v[30:31]
	v_fmac_f64_e32 v[2:3], v[28:29], v[32:33]
	v_mul_f64 v[40:41], v[6:7], v[2:3]
	ds_read_b128 v[2:5], v27 offset:22464
	v_mul_f64 v[8:9], v[34:35], -v[28:29]
	v_fmac_f64_e32 v[8:9], v[30:31], v[32:33]
	ds_read_b128 v[28:31], v26
	ds_read_b128 v[32:35], v23
	v_mul_f64 v[16:17], v[10:11], v[16:17]
	v_mul_f64 v[42:43], v[6:7], v[8:9]
	ds_read_b128 v[6:9], v27 offset:24512
	s_waitcnt lgkmcnt(3)
	v_mul_f64 v[10:11], v[46:47], -v[4:5]
	v_fmac_f64_e32 v[10:11], v[2:3], v[16:17]
	v_mul_f64 v[2:3], v[46:47], v[2:3]
	v_fmac_f64_e32 v[2:3], v[4:5], v[16:17]
	s_waitcnt lgkmcnt(2)
	v_add_f64 v[4:5], v[28:29], -v[10:11]
	v_add_f64 v[10:11], v[30:31], -v[2:3]
	v_mul_f64 v[2:3], v[42:43], -v[38:39]
	v_mul_f64 v[28:29], v[42:43], v[36:37]
	v_fmac_f64_e32 v[2:3], v[36:37], v[40:41]
	v_fmac_f64_e32 v[28:29], v[38:39], v[40:41]
	v_add_f64 v[2:3], v[4:5], -v[2:3]
	v_add_f64 v[4:5], v[10:11], -v[28:29]
	ds_read_b128 v[28:31], v48 offset:24640
	s_waitcnt lgkmcnt(1)
	v_mul_f64 v[10:11], v[46:47], -v[8:9]
	v_fmac_f64_e32 v[10:11], v[6:7], v[16:17]
	v_mul_f64 v[6:7], v[46:47], v[6:7]
	v_fmac_f64_e32 v[6:7], v[8:9], v[16:17]
	v_add_f64 v[8:9], v[32:33], -v[10:11]
	v_add_f64 v[10:11], v[34:35], -v[6:7]
	ds_read_b128 v[32:35], v48 offset:22592
	s_waitcnt lgkmcnt(1)
	v_mul_f64 v[6:7], v[42:43], -v[30:31]
	v_fmac_f64_e32 v[6:7], v[28:29], v[40:41]
	v_mul_f64 v[28:29], v[42:43], v[28:29]
	v_fmac_f64_e32 v[28:29], v[30:31], v[40:41]
	v_add_f64 v[6:7], v[8:9], -v[6:7]
	v_add_f64 v[8:9], v[10:11], -v[28:29]
	v_mul_f64 v[10:11], v[46:47], v[14:15]
	v_fma_f64 v[10:11], -v[12:13], v[16:17], v[10:11]
	v_mul_f64 v[12:13], v[46:47], -v[12:13]
	v_fma_f64 v[12:13], -v[14:15], v[16:17], v[12:13]
	s_waitcnt lgkmcnt(0)
	v_mul_f64 v[14:15], v[42:43], v[34:35]
	v_mul_f64 v[16:17], v[42:43], -v[32:33]
	v_fma_f64 v[14:15], -v[32:33], v[40:41], v[14:15]
	v_fma_f64 v[16:17], -v[34:35], v[40:41], v[16:17]
.LBB70_16:
	s_or_b64 exec, exec, s[4:5]
	s_barrier
	s_and_saveexec_b64 s[4:5], s[2:3]
	s_cbranch_execz .LBB70_18
; %bb.17:
	ds_write_b128 v26, v[2:5]
	ds_write_b128 v23, v[6:9]
	;; [unrolled: 1-line block ×4, first 2 shown]
.LBB70_18:
	s_or_b64 exec, exec, s[4:5]
	s_waitcnt lgkmcnt(0)
	s_barrier
	s_and_saveexec_b64 s[4:5], s[2:3]
	s_cbranch_execz .LBB70_20
; %bb.19:
	v_max_u32_e32 v2, 8, v0
	v_lshlrev_b32_e32 v27, 4, v2
	ds_read_b128 v[2:5], v27 offset:21376
	ds_read_b128 v[12:15], v27 offset:20352
	v_min_u32_e32 v30, 55, v0
	v_lshlrev_b32_e32 v48, 4, v30
	s_waitcnt lgkmcnt(1)
	v_mul_f64 v[10:11], v[4:5], v[4:5]
	v_fmac_f64_e32 v[10:11], v[2:3], v[2:3]
	v_div_scale_f64 v[6:7], s[6:7], v[10:11], v[10:11], 1.0
	v_rcp_f64_e32 v[8:9], v[6:7]
	v_div_scale_f64 v[16:17], vcc, 1.0, v[10:11], 1.0
	v_fma_f64 v[28:29], -v[6:7], v[8:9], 1.0
	v_fmac_f64_e32 v[8:9], v[8:9], v[28:29]
	v_fma_f64 v[28:29], -v[6:7], v[8:9], 1.0
	v_fmac_f64_e32 v[8:9], v[8:9], v[28:29]
	v_mul_f64 v[28:29], v[16:17], v[8:9]
	v_fma_f64 v[6:7], -v[6:7], v[28:29], v[16:17]
	v_div_fmas_f64 v[16:17], v[6:7], v[8:9], v[28:29]
	ds_read_b128 v[6:9], v25
	ds_read_b128 v[28:31], v24
	ds_read_b128 v[32:35], v48 offset:21632
	v_div_fixup_f64 v[10:11], v[16:17], v[10:11], 1.0
	ds_read_b128 v[36:39], v48 offset:20608
	s_waitcnt lgkmcnt(3)
	v_mul_f64 v[16:17], v[4:5], v[8:9]
	s_waitcnt lgkmcnt(1)
	v_mul_f64 v[40:41], v[34:35], v[34:35]
	v_fmac_f64_e32 v[40:41], v[32:33], v[32:33]
	v_div_scale_f64 v[42:43], s[6:7], v[40:41], v[40:41], 1.0
	v_rcp_f64_e32 v[44:45], v[42:43]
	v_mul_f64 v[4:5], v[4:5], -v[6:7]
	v_fmac_f64_e32 v[16:17], v[6:7], v[2:3]
	v_fmac_f64_e32 v[4:5], v[8:9], v[2:3]
	v_fma_f64 v[2:3], -v[42:43], v[44:45], 1.0
	v_fmac_f64_e32 v[44:45], v[44:45], v[2:3]
	v_fma_f64 v[2:3], -v[42:43], v[44:45], 1.0
	v_fmac_f64_e32 v[44:45], v[44:45], v[2:3]
	v_div_scale_f64 v[2:3], vcc, 1.0, v[40:41], 1.0
	v_mul_f64 v[46:47], v[10:11], v[4:5]
	v_mul_f64 v[4:5], v[2:3], v[44:45]
	v_fma_f64 v[2:3], -v[42:43], v[4:5], v[2:3]
	s_nop 0
	v_div_fmas_f64 v[2:3], v[2:3], v[44:45], v[4:5]
	v_div_fixup_f64 v[6:7], v[2:3], v[40:41], 1.0
	v_mul_f64 v[2:3], v[34:35], v[30:31]
	v_fmac_f64_e32 v[2:3], v[28:29], v[32:33]
	v_mul_f64 v[40:41], v[6:7], v[2:3]
	ds_read_b128 v[2:5], v27 offset:22400
	v_mul_f64 v[8:9], v[34:35], -v[28:29]
	v_fmac_f64_e32 v[8:9], v[30:31], v[32:33]
	ds_read_b128 v[28:31], v26
	ds_read_b128 v[32:35], v23
	v_mul_f64 v[16:17], v[10:11], v[16:17]
	v_mul_f64 v[42:43], v[6:7], v[8:9]
	ds_read_b128 v[6:9], v27 offset:24448
	s_waitcnt lgkmcnt(3)
	v_mul_f64 v[10:11], v[46:47], -v[4:5]
	v_fmac_f64_e32 v[10:11], v[2:3], v[16:17]
	v_mul_f64 v[2:3], v[46:47], v[2:3]
	v_fmac_f64_e32 v[2:3], v[4:5], v[16:17]
	s_waitcnt lgkmcnt(2)
	v_add_f64 v[4:5], v[28:29], -v[10:11]
	v_add_f64 v[10:11], v[30:31], -v[2:3]
	v_mul_f64 v[2:3], v[42:43], -v[38:39]
	v_mul_f64 v[28:29], v[42:43], v[36:37]
	v_fmac_f64_e32 v[2:3], v[36:37], v[40:41]
	v_fmac_f64_e32 v[28:29], v[38:39], v[40:41]
	v_add_f64 v[2:3], v[4:5], -v[2:3]
	v_add_f64 v[4:5], v[10:11], -v[28:29]
	ds_read_b128 v[28:31], v48 offset:24704
	s_waitcnt lgkmcnt(1)
	v_mul_f64 v[10:11], v[46:47], -v[8:9]
	v_fmac_f64_e32 v[10:11], v[6:7], v[16:17]
	v_mul_f64 v[6:7], v[46:47], v[6:7]
	v_fmac_f64_e32 v[6:7], v[8:9], v[16:17]
	v_add_f64 v[8:9], v[32:33], -v[10:11]
	v_add_f64 v[10:11], v[34:35], -v[6:7]
	ds_read_b128 v[32:35], v48 offset:22656
	s_waitcnt lgkmcnt(1)
	v_mul_f64 v[6:7], v[42:43], -v[30:31]
	v_fmac_f64_e32 v[6:7], v[28:29], v[40:41]
	v_mul_f64 v[28:29], v[42:43], v[28:29]
	v_fmac_f64_e32 v[28:29], v[30:31], v[40:41]
	v_add_f64 v[6:7], v[8:9], -v[6:7]
	v_add_f64 v[8:9], v[10:11], -v[28:29]
	v_mul_f64 v[10:11], v[46:47], v[14:15]
	v_fma_f64 v[10:11], -v[12:13], v[16:17], v[10:11]
	v_mul_f64 v[12:13], v[46:47], -v[12:13]
	v_fma_f64 v[12:13], -v[14:15], v[16:17], v[12:13]
	s_waitcnt lgkmcnt(0)
	v_mul_f64 v[14:15], v[42:43], v[34:35]
	v_mul_f64 v[16:17], v[42:43], -v[32:33]
	v_fma_f64 v[14:15], -v[32:33], v[40:41], v[14:15]
	v_fma_f64 v[16:17], -v[34:35], v[40:41], v[16:17]
.LBB70_20:
	s_or_b64 exec, exec, s[4:5]
	s_barrier
	s_and_saveexec_b64 s[4:5], s[2:3]
	s_cbranch_execz .LBB70_22
; %bb.21:
	ds_write_b128 v26, v[2:5]
	ds_write_b128 v23, v[6:9]
	;; [unrolled: 1-line block ×4, first 2 shown]
.LBB70_22:
	s_or_b64 exec, exec, s[4:5]
	s_waitcnt lgkmcnt(0)
	s_barrier
	s_and_saveexec_b64 s[4:5], s[2:3]
	s_cbranch_execz .LBB70_24
; %bb.23:
	v_max_u32_e32 v2, 16, v0
	v_lshlrev_b32_e32 v27, 4, v2
	ds_read_b128 v[2:5], v27 offset:21248
	ds_read_b128 v[12:15], v27 offset:20224
	v_min_u32_e32 v30, 47, v0
	v_lshlrev_b32_e32 v48, 4, v30
	s_waitcnt lgkmcnt(1)
	v_mul_f64 v[10:11], v[4:5], v[4:5]
	v_fmac_f64_e32 v[10:11], v[2:3], v[2:3]
	v_div_scale_f64 v[6:7], s[6:7], v[10:11], v[10:11], 1.0
	v_rcp_f64_e32 v[8:9], v[6:7]
	v_div_scale_f64 v[16:17], vcc, 1.0, v[10:11], 1.0
	v_fma_f64 v[28:29], -v[6:7], v[8:9], 1.0
	v_fmac_f64_e32 v[8:9], v[8:9], v[28:29]
	v_fma_f64 v[28:29], -v[6:7], v[8:9], 1.0
	v_fmac_f64_e32 v[8:9], v[8:9], v[28:29]
	v_mul_f64 v[28:29], v[16:17], v[8:9]
	v_fma_f64 v[6:7], -v[6:7], v[28:29], v[16:17]
	v_div_fmas_f64 v[16:17], v[6:7], v[8:9], v[28:29]
	ds_read_b128 v[6:9], v25
	ds_read_b128 v[28:31], v24
	ds_read_b128 v[32:35], v48 offset:21760
	v_div_fixup_f64 v[10:11], v[16:17], v[10:11], 1.0
	ds_read_b128 v[36:39], v48 offset:20736
	s_waitcnt lgkmcnt(3)
	v_mul_f64 v[16:17], v[4:5], v[8:9]
	s_waitcnt lgkmcnt(1)
	v_mul_f64 v[40:41], v[34:35], v[34:35]
	v_fmac_f64_e32 v[40:41], v[32:33], v[32:33]
	v_div_scale_f64 v[42:43], s[6:7], v[40:41], v[40:41], 1.0
	v_rcp_f64_e32 v[44:45], v[42:43]
	v_mul_f64 v[4:5], v[4:5], -v[6:7]
	v_fmac_f64_e32 v[16:17], v[6:7], v[2:3]
	v_fmac_f64_e32 v[4:5], v[8:9], v[2:3]
	v_fma_f64 v[2:3], -v[42:43], v[44:45], 1.0
	v_fmac_f64_e32 v[44:45], v[44:45], v[2:3]
	v_fma_f64 v[2:3], -v[42:43], v[44:45], 1.0
	v_fmac_f64_e32 v[44:45], v[44:45], v[2:3]
	v_div_scale_f64 v[2:3], vcc, 1.0, v[40:41], 1.0
	v_mul_f64 v[46:47], v[10:11], v[4:5]
	v_mul_f64 v[4:5], v[2:3], v[44:45]
	v_fma_f64 v[2:3], -v[42:43], v[4:5], v[2:3]
	s_nop 0
	v_div_fmas_f64 v[2:3], v[2:3], v[44:45], v[4:5]
	v_div_fixup_f64 v[6:7], v[2:3], v[40:41], 1.0
	v_mul_f64 v[2:3], v[34:35], v[30:31]
	v_fmac_f64_e32 v[2:3], v[28:29], v[32:33]
	v_mul_f64 v[40:41], v[6:7], v[2:3]
	ds_read_b128 v[2:5], v27 offset:22272
	v_mul_f64 v[8:9], v[34:35], -v[28:29]
	v_fmac_f64_e32 v[8:9], v[30:31], v[32:33]
	ds_read_b128 v[28:31], v26
	ds_read_b128 v[32:35], v23
	v_mul_f64 v[16:17], v[10:11], v[16:17]
	v_mul_f64 v[42:43], v[6:7], v[8:9]
	ds_read_b128 v[6:9], v27 offset:24320
	s_waitcnt lgkmcnt(3)
	v_mul_f64 v[10:11], v[46:47], -v[4:5]
	v_fmac_f64_e32 v[10:11], v[2:3], v[16:17]
	v_mul_f64 v[2:3], v[46:47], v[2:3]
	v_fmac_f64_e32 v[2:3], v[4:5], v[16:17]
	s_waitcnt lgkmcnt(2)
	v_add_f64 v[4:5], v[28:29], -v[10:11]
	v_add_f64 v[10:11], v[30:31], -v[2:3]
	v_mul_f64 v[2:3], v[42:43], -v[38:39]
	v_mul_f64 v[28:29], v[42:43], v[36:37]
	v_fmac_f64_e32 v[2:3], v[36:37], v[40:41]
	v_fmac_f64_e32 v[28:29], v[38:39], v[40:41]
	v_add_f64 v[2:3], v[4:5], -v[2:3]
	v_add_f64 v[4:5], v[10:11], -v[28:29]
	ds_read_b128 v[28:31], v48 offset:24832
	s_waitcnt lgkmcnt(1)
	v_mul_f64 v[10:11], v[46:47], -v[8:9]
	v_fmac_f64_e32 v[10:11], v[6:7], v[16:17]
	v_mul_f64 v[6:7], v[46:47], v[6:7]
	v_fmac_f64_e32 v[6:7], v[8:9], v[16:17]
	v_add_f64 v[8:9], v[32:33], -v[10:11]
	v_add_f64 v[10:11], v[34:35], -v[6:7]
	ds_read_b128 v[32:35], v48 offset:22784
	s_waitcnt lgkmcnt(1)
	v_mul_f64 v[6:7], v[42:43], -v[30:31]
	v_fmac_f64_e32 v[6:7], v[28:29], v[40:41]
	v_mul_f64 v[28:29], v[42:43], v[28:29]
	v_fmac_f64_e32 v[28:29], v[30:31], v[40:41]
	v_add_f64 v[6:7], v[8:9], -v[6:7]
	v_add_f64 v[8:9], v[10:11], -v[28:29]
	v_mul_f64 v[10:11], v[46:47], v[14:15]
	v_fma_f64 v[10:11], -v[12:13], v[16:17], v[10:11]
	v_mul_f64 v[12:13], v[46:47], -v[12:13]
	v_fma_f64 v[12:13], -v[14:15], v[16:17], v[12:13]
	s_waitcnt lgkmcnt(0)
	v_mul_f64 v[14:15], v[42:43], v[34:35]
	v_mul_f64 v[16:17], v[42:43], -v[32:33]
	v_fma_f64 v[14:15], -v[32:33], v[40:41], v[14:15]
	v_fma_f64 v[16:17], -v[34:35], v[40:41], v[16:17]
.LBB70_24:
	s_or_b64 exec, exec, s[4:5]
	s_barrier
	s_and_saveexec_b64 s[4:5], s[2:3]
	s_cbranch_execz .LBB70_26
; %bb.25:
	ds_write_b128 v26, v[2:5]
	ds_write_b128 v23, v[6:9]
	;; [unrolled: 1-line block ×4, first 2 shown]
.LBB70_26:
	s_or_b64 exec, exec, s[4:5]
	v_cmp_gt_u32_e32 vcc, 32, v0
	s_waitcnt lgkmcnt(0)
	s_barrier
	s_and_saveexec_b64 s[4:5], vcc
	s_cbranch_execz .LBB70_28
; %bb.27:
	ds_read_b128 v[2:5], v26
	ds_read_b128 v[6:9], v26 offset:512
	ds_read_b128 v[10:13], v25 offset:512
	ds_read_b128 v[14:17], v24
	s_waitcnt lgkmcnt(2)
	v_mul_f64 v[26:27], v[4:5], v[6:7]
	v_mul_f64 v[24:25], v[4:5], -v[8:9]
	s_waitcnt lgkmcnt(0)
	v_mul_f64 v[30:31], v[12:13], v[14:15]
	v_fmac_f64_e32 v[26:27], v[8:9], v[2:3]
	v_mul_f64 v[28:29], v[12:13], -v[16:17]
	v_fmac_f64_e32 v[30:31], v[16:17], v[10:11]
	v_fmac_f64_e32 v[24:25], v[6:7], v[2:3]
	;; [unrolled: 1-line block ×3, first 2 shown]
	v_add_f64 v[30:31], v[26:27], -v[30:31]
	v_add_f64 v[28:29], v[24:25], -v[28:29]
	v_mul_f64 v[24:25], v[30:31], v[30:31]
	v_fmac_f64_e32 v[24:25], v[28:29], v[28:29]
	v_div_scale_f64 v[26:27], s[6:7], v[24:25], v[24:25], 1.0
	v_rcp_f64_e32 v[32:33], v[26:27]
	v_fma_f64 v[34:35], -v[26:27], v[32:33], 1.0
	v_fmac_f64_e32 v[32:33], v[32:33], v[34:35]
	v_fma_f64 v[34:35], -v[26:27], v[32:33], 1.0
	v_fmac_f64_e32 v[32:33], v[32:33], v[34:35]
	v_div_scale_f64 v[34:35], vcc, 1.0, v[24:25], 1.0
	v_mul_f64 v[36:37], v[34:35], v[32:33]
	v_fma_f64 v[26:27], -v[26:27], v[36:37], v[34:35]
	v_fma_f64 v[34:35], 0, v[30:31], v[28:29]
	s_nop 0
	v_div_fmas_f64 v[26:27], v[26:27], v[32:33], v[36:37]
	v_div_fixup_f64 v[32:33], v[26:27], v[24:25], 1.0
	ds_read_b128 v[24:27], v23
	v_fma_f64 v[28:29], v[28:29], 0, -v[30:31]
	v_mul_f64 v[34:35], v[34:35], v[32:33]
	v_mul_f64 v[32:33], v[28:29], v[32:33]
	ds_read_b128 v[28:31], v23 offset:512
	s_waitcnt lgkmcnt(1)
	v_mul_f64 v[36:37], v[26:27], -v[8:9]
	v_fmac_f64_e32 v[36:37], v[6:7], v[24:25]
	v_mul_f64 v[6:7], v[6:7], v[26:27]
	v_fmac_f64_e32 v[6:7], v[8:9], v[24:25]
	s_waitcnt lgkmcnt(0)
	v_mul_f64 v[8:9], v[30:31], -v[16:17]
	v_fmac_f64_e32 v[8:9], v[14:15], v[28:29]
	v_mul_f64 v[14:15], v[14:15], v[30:31]
	v_fmac_f64_e32 v[14:15], v[16:17], v[28:29]
	v_add_f64 v[14:15], v[6:7], -v[14:15]
	v_add_f64 v[8:9], v[36:37], -v[8:9]
	v_mul_f64 v[6:7], v[32:33], -v[14:15]
	v_fmac_f64_e32 v[6:7], v[8:9], v[34:35]
	v_mul_f64 v[8:9], v[32:33], v[8:9]
	v_fmac_f64_e32 v[8:9], v[14:15], v[34:35]
	ds_write_b128 v22, v[6:9] offset:23552
	v_mul_f64 v[6:7], v[4:5], -v[30:31]
	v_mul_f64 v[4:5], v[4:5], v[28:29]
	v_fmac_f64_e32 v[6:7], v[28:29], v[2:3]
	v_fmac_f64_e32 v[4:5], v[30:31], v[2:3]
	v_mul_f64 v[2:3], v[12:13], -v[26:27]
	v_mul_f64 v[8:9], v[12:13], v[24:25]
	v_fmac_f64_e32 v[2:3], v[24:25], v[10:11]
	v_fmac_f64_e32 v[8:9], v[26:27], v[10:11]
	v_add_f64 v[6:7], v[6:7], -v[2:3]
	v_add_f64 v[8:9], v[4:5], -v[8:9]
	v_mul_f64 v[2:3], v[32:33], -v[8:9]
	v_mul_f64 v[4:5], v[32:33], v[6:7]
	v_fmac_f64_e32 v[2:3], v[6:7], v[34:35]
	v_fmac_f64_e32 v[4:5], v[8:9], v[34:35]
	ds_write_b128 v22, v[2:5] offset:24064
.LBB70_28:
	s_or_b64 exec, exec, s[4:5]
	s_waitcnt lgkmcnt(0)
	s_barrier
	s_and_saveexec_b64 s[4:5], s[2:3]
	s_cbranch_execz .LBB70_30
; %bb.29:
	ds_read_b128 v[2:5], v22 offset:23552
	s_waitcnt lgkmcnt(0)
	ds_write_b128 v1, v[2:5] offset:12272
.LBB70_30:
	s_or_b64 exec, exec, s[4:5]
	s_waitcnt lgkmcnt(0)
	s_barrier
	s_and_saveexec_b64 s[4:5], s[2:3]
	s_cbranch_execz .LBB70_36
; %bb.31:
	v_lshlrev_b32_e32 v1, 2, v0
	v_cmp_ne_u32_e32 vcc, 0, v0
	v_lshlrev_b32_e32 v1, 4, v1
                                        ; implicit-def: $vgpr4_vgpr5
	s_and_saveexec_b64 s[2:3], vcc
	s_xor_b64 s[2:3], exec, s[2:3]
	s_cbranch_execz .LBB70_33
; %bb.32:
	ds_read_b128 v[2:5], v1 offset:16
	ds_read_b128 v[6:9], v1 offset:12272
	;; [unrolled: 1-line block ×6, first 2 shown]
	s_waitcnt lgkmcnt(4)
	v_mul_f64 v[32:33], v[8:9], -v[4:5]
	v_fmac_f64_e32 v[32:33], v[2:3], v[6:7]
	v_mul_f64 v[2:3], v[8:9], v[2:3]
	v_fmac_f64_e32 v[2:3], v[4:5], v[6:7]
	s_waitcnt lgkmcnt(0)
	v_mul_f64 v[6:7], v[30:31], -v[12:13]
	v_fmac_f64_e32 v[6:7], v[10:11], v[28:29]
	v_mul_f64 v[8:9], v[30:31], v[10:11]
	v_mul_f64 v[10:11], v[16:17], v[16:17]
	v_fmac_f64_e32 v[10:11], v[14:15], v[14:15]
	v_add_f64 v[4:5], v[24:25], -v[32:33]
	v_div_scale_f64 v[24:25], s[6:7], v[10:11], v[10:11], 1.0
	v_add_f64 v[2:3], v[26:27], -v[2:3]
	v_rcp_f64_e32 v[26:27], v[24:25]
	v_fmac_f64_e32 v[8:9], v[12:13], v[28:29]
	v_add_f64 v[4:5], v[4:5], -v[6:7]
	v_add_f64 v[6:7], v[2:3], -v[8:9]
	v_fma_f64 v[2:3], -v[24:25], v[26:27], 1.0
	v_fmac_f64_e32 v[26:27], v[26:27], v[2:3]
	v_fma_f64 v[2:3], -v[24:25], v[26:27], 1.0
	v_fmac_f64_e32 v[26:27], v[26:27], v[2:3]
	v_div_scale_f64 v[2:3], vcc, 1.0, v[10:11], 1.0
	v_mul_f64 v[8:9], v[2:3], v[26:27]
	v_fma_f64 v[2:3], -v[24:25], v[8:9], v[2:3]
	s_nop 1
	v_div_fmas_f64 v[2:3], v[2:3], v[26:27], v[8:9]
	v_div_fixup_f64 v[8:9], v[2:3], v[10:11], 1.0
	v_mul_f64 v[2:3], v[6:7], v[16:17]
	v_fmac_f64_e32 v[2:3], v[4:5], v[14:15]
	v_mul_f64 v[4:5], v[16:17], -v[4:5]
	v_fmac_f64_e32 v[4:5], v[6:7], v[14:15]
	v_mul_f64 v[2:3], v[2:3], v[8:9]
	v_mul_f64 v[4:5], v[8:9], v[4:5]
.LBB70_33:
	s_andn2_saveexec_b64 s[2:3], s[2:3]
	s_cbranch_execz .LBB70_35
; %bb.34:
	ds_read_b128 v[2:5], v1 offset:12336
	ds_read_b128 v[6:9], v1 offset:8208
	;; [unrolled: 1-line block ×4, first 2 shown]
	s_waitcnt lgkmcnt(2)
	v_mul_f64 v[24:25], v[4:5], -v[8:9]
	v_mul_f64 v[4:5], v[4:5], v[6:7]
	v_fmac_f64_e32 v[24:25], v[6:7], v[2:3]
	s_waitcnt lgkmcnt(1)
	v_mul_f64 v[6:7], v[12:13], v[12:13]
	v_fmac_f64_e32 v[6:7], v[10:11], v[10:11]
	v_div_scale_f64 v[26:27], s[6:7], v[6:7], v[6:7], 1.0
	v_rcp_f64_e32 v[28:29], v[26:27]
	v_fmac_f64_e32 v[4:5], v[8:9], v[2:3]
	s_waitcnt lgkmcnt(0)
	v_add_f64 v[8:9], v[14:15], -v[24:25]
	v_add_f64 v[4:5], v[16:17], -v[4:5]
	v_fma_f64 v[2:3], -v[26:27], v[28:29], 1.0
	v_fmac_f64_e32 v[28:29], v[28:29], v[2:3]
	v_fma_f64 v[2:3], -v[26:27], v[28:29], 1.0
	v_fmac_f64_e32 v[28:29], v[28:29], v[2:3]
	v_div_scale_f64 v[2:3], vcc, 1.0, v[6:7], 1.0
	v_mul_f64 v[14:15], v[2:3], v[28:29]
	v_fma_f64 v[2:3], -v[26:27], v[14:15], v[2:3]
	s_nop 1
	v_div_fmas_f64 v[2:3], v[2:3], v[28:29], v[14:15]
	v_div_fixup_f64 v[6:7], v[2:3], v[6:7], 1.0
	v_mul_f64 v[2:3], v[4:5], v[12:13]
	v_fmac_f64_e32 v[2:3], v[8:9], v[10:11]
	v_mul_f64 v[8:9], v[12:13], -v[8:9]
	v_fmac_f64_e32 v[8:9], v[4:5], v[10:11]
	v_mul_f64 v[2:3], v[2:3], v[6:7]
	v_mul_f64 v[4:5], v[8:9], v[6:7]
.LBB70_35:
	s_or_b64 exec, exec, s[2:3]
	ds_write_b128 v1, v[2:5] offset:12304
.LBB70_36:
	s_or_b64 exec, exec, s[4:5]
	s_waitcnt lgkmcnt(0)
	s_barrier
	s_and_saveexec_b64 s[2:3], s[0:1]
	s_cbranch_execz .LBB70_42
; %bb.37:
	v_lshlrev_b32_e32 v1, 1, v0
	v_cmp_ne_u32_e32 vcc, 0, v0
	v_lshlrev_b32_e32 v4, 4, v1
                                        ; implicit-def: $vgpr2_vgpr3
	s_and_saveexec_b64 s[0:1], vcc
	s_xor_b64 s[0:1], exec, s[0:1]
	s_cbranch_execz .LBB70_39
; %bb.38:
	ds_read_b128 v[0:3], v4
	ds_read_b128 v[6:9], v4 offset:12272
	ds_read_b128 v[10:13], v4 offset:8192
	;; [unrolled: 1-line block ×5, first 2 shown]
	s_waitcnt lgkmcnt(4)
	v_mul_f64 v[32:33], v[8:9], -v[2:3]
	v_fmac_f64_e32 v[32:33], v[0:1], v[6:7]
	v_mul_f64 v[0:1], v[8:9], v[0:1]
	v_fmac_f64_e32 v[0:1], v[2:3], v[6:7]
	s_waitcnt lgkmcnt(0)
	v_mul_f64 v[6:7], v[30:31], -v[12:13]
	v_fmac_f64_e32 v[6:7], v[10:11], v[28:29]
	v_mul_f64 v[8:9], v[30:31], v[10:11]
	v_mul_f64 v[10:11], v[16:17], v[16:17]
	v_fmac_f64_e32 v[10:11], v[14:15], v[14:15]
	v_add_f64 v[2:3], v[24:25], -v[32:33]
	v_div_scale_f64 v[24:25], s[4:5], v[10:11], v[10:11], 1.0
	v_add_f64 v[0:1], v[26:27], -v[0:1]
	v_rcp_f64_e32 v[26:27], v[24:25]
	v_fmac_f64_e32 v[8:9], v[12:13], v[28:29]
	v_add_f64 v[2:3], v[2:3], -v[6:7]
	v_add_f64 v[6:7], v[0:1], -v[8:9]
	v_fma_f64 v[0:1], -v[24:25], v[26:27], 1.0
	v_fmac_f64_e32 v[26:27], v[26:27], v[0:1]
	v_fma_f64 v[0:1], -v[24:25], v[26:27], 1.0
	v_fmac_f64_e32 v[26:27], v[26:27], v[0:1]
	v_div_scale_f64 v[0:1], vcc, 1.0, v[10:11], 1.0
	v_mul_f64 v[8:9], v[0:1], v[26:27]
	v_fma_f64 v[0:1], -v[24:25], v[8:9], v[0:1]
	s_nop 1
	v_div_fmas_f64 v[0:1], v[0:1], v[26:27], v[8:9]
	v_div_fixup_f64 v[8:9], v[0:1], v[10:11], 1.0
	v_mul_f64 v[0:1], v[6:7], v[16:17]
	v_fmac_f64_e32 v[0:1], v[2:3], v[14:15]
	v_mul_f64 v[2:3], v[16:17], -v[2:3]
	v_fmac_f64_e32 v[2:3], v[6:7], v[14:15]
	v_mul_f64 v[0:1], v[0:1], v[8:9]
	v_mul_f64 v[2:3], v[8:9], v[2:3]
.LBB70_39:
	s_andn2_saveexec_b64 s[0:1], s[0:1]
	s_cbranch_execz .LBB70_41
; %bb.40:
	ds_read_b128 v[0:3], v4 offset:12304
	ds_read_b128 v[6:9], v4 offset:8192
	;; [unrolled: 1-line block ×4, first 2 shown]
	s_waitcnt lgkmcnt(2)
	v_mul_f64 v[24:25], v[2:3], -v[8:9]
	v_mul_f64 v[2:3], v[2:3], v[6:7]
	v_fmac_f64_e32 v[24:25], v[6:7], v[0:1]
	s_waitcnt lgkmcnt(1)
	v_mul_f64 v[6:7], v[12:13], v[12:13]
	v_fmac_f64_e32 v[6:7], v[10:11], v[10:11]
	v_div_scale_f64 v[26:27], s[4:5], v[6:7], v[6:7], 1.0
	v_rcp_f64_e32 v[28:29], v[26:27]
	v_fmac_f64_e32 v[2:3], v[8:9], v[0:1]
	s_waitcnt lgkmcnt(0)
	v_add_f64 v[8:9], v[14:15], -v[24:25]
	v_add_f64 v[2:3], v[16:17], -v[2:3]
	v_fma_f64 v[0:1], -v[26:27], v[28:29], 1.0
	v_fmac_f64_e32 v[28:29], v[28:29], v[0:1]
	v_fma_f64 v[0:1], -v[26:27], v[28:29], 1.0
	v_fmac_f64_e32 v[28:29], v[28:29], v[0:1]
	v_div_scale_f64 v[0:1], vcc, 1.0, v[6:7], 1.0
	v_mul_f64 v[14:15], v[0:1], v[28:29]
	v_fma_f64 v[0:1], -v[26:27], v[14:15], v[0:1]
	s_nop 1
	v_div_fmas_f64 v[0:1], v[0:1], v[28:29], v[14:15]
	v_div_fixup_f64 v[6:7], v[0:1], v[6:7], 1.0
	v_mul_f64 v[0:1], v[2:3], v[12:13]
	v_fmac_f64_e32 v[0:1], v[8:9], v[10:11]
	v_mul_f64 v[8:9], v[12:13], -v[8:9]
	v_fmac_f64_e32 v[8:9], v[2:3], v[10:11]
	v_mul_f64 v[0:1], v[0:1], v[6:7]
	v_mul_f64 v[2:3], v[8:9], v[6:7]
.LBB70_41:
	s_or_b64 exec, exec, s[0:1]
	ds_write_b128 v4, v[0:3] offset:12288
.LBB70_42:
	s_or_b64 exec, exec, s[2:3]
	v_or_b32_e32 v0, 0x3000, v22
	v_or_b32_e32 v4, 0x3800, v22
	s_waitcnt lgkmcnt(0)
	s_barrier
	ds_read2_b64 v[0:3], v0 offset1:1
	ds_read2_b64 v[4:7], v4 offset1:1
	s_waitcnt lgkmcnt(1)
	global_store_dwordx4 v[18:19], v[0:3], off
	s_waitcnt lgkmcnt(0)
	global_store_dwordx4 v[20:21], v[4:7], off
	s_endpgm
	.section	.rodata,"a",@progbits
	.p2align	6, 0x0
	.amdhsa_kernel _ZN9rocsparseL51gtsv_nopivot_strided_batch_crpcr_pow2_shared_kernelILj128ELj64E21rocsparse_complex_numIdEEEviiiPKT1_S5_S5_PS3_
		.amdhsa_group_segment_fixed_size 25600
		.amdhsa_private_segment_fixed_size 0
		.amdhsa_kernarg_size 48
		.amdhsa_user_sgpr_count 6
		.amdhsa_user_sgpr_private_segment_buffer 1
		.amdhsa_user_sgpr_dispatch_ptr 0
		.amdhsa_user_sgpr_queue_ptr 0
		.amdhsa_user_sgpr_kernarg_segment_ptr 1
		.amdhsa_user_sgpr_dispatch_id 0
		.amdhsa_user_sgpr_flat_scratch_init 0
		.amdhsa_user_sgpr_kernarg_preload_length 0
		.amdhsa_user_sgpr_kernarg_preload_offset 0
		.amdhsa_user_sgpr_private_segment_size 0
		.amdhsa_uses_dynamic_stack 0
		.amdhsa_system_sgpr_private_segment_wavefront_offset 0
		.amdhsa_system_sgpr_workgroup_id_x 1
		.amdhsa_system_sgpr_workgroup_id_y 0
		.amdhsa_system_sgpr_workgroup_id_z 0
		.amdhsa_system_sgpr_workgroup_info 0
		.amdhsa_system_vgpr_workitem_id 0
		.amdhsa_next_free_vgpr 49
		.amdhsa_next_free_sgpr 16
		.amdhsa_accum_offset 52
		.amdhsa_reserve_vcc 1
		.amdhsa_reserve_flat_scratch 0
		.amdhsa_float_round_mode_32 0
		.amdhsa_float_round_mode_16_64 0
		.amdhsa_float_denorm_mode_32 3
		.amdhsa_float_denorm_mode_16_64 3
		.amdhsa_dx10_clamp 1
		.amdhsa_ieee_mode 1
		.amdhsa_fp16_overflow 0
		.amdhsa_tg_split 0
		.amdhsa_exception_fp_ieee_invalid_op 0
		.amdhsa_exception_fp_denorm_src 0
		.amdhsa_exception_fp_ieee_div_zero 0
		.amdhsa_exception_fp_ieee_overflow 0
		.amdhsa_exception_fp_ieee_underflow 0
		.amdhsa_exception_fp_ieee_inexact 0
		.amdhsa_exception_int_div_zero 0
	.end_amdhsa_kernel
	.section	.text._ZN9rocsparseL51gtsv_nopivot_strided_batch_crpcr_pow2_shared_kernelILj128ELj64E21rocsparse_complex_numIdEEEviiiPKT1_S5_S5_PS3_,"axG",@progbits,_ZN9rocsparseL51gtsv_nopivot_strided_batch_crpcr_pow2_shared_kernelILj128ELj64E21rocsparse_complex_numIdEEEviiiPKT1_S5_S5_PS3_,comdat
.Lfunc_end70:
	.size	_ZN9rocsparseL51gtsv_nopivot_strided_batch_crpcr_pow2_shared_kernelILj128ELj64E21rocsparse_complex_numIdEEEviiiPKT1_S5_S5_PS3_, .Lfunc_end70-_ZN9rocsparseL51gtsv_nopivot_strided_batch_crpcr_pow2_shared_kernelILj128ELj64E21rocsparse_complex_numIdEEEviiiPKT1_S5_S5_PS3_
                                        ; -- End function
	.section	.AMDGPU.csdata,"",@progbits
; Kernel info:
; codeLenInByte = 7084
; NumSgprs: 20
; NumVgprs: 49
; NumAgprs: 0
; TotalNumVgprs: 49
; ScratchSize: 0
; MemoryBound: 0
; FloatMode: 240
; IeeeMode: 1
; LDSByteSize: 25600 bytes/workgroup (compile time only)
; SGPRBlocks: 2
; VGPRBlocks: 6
; NumSGPRsForWavesPerEU: 20
; NumVGPRsForWavesPerEU: 49
; AccumOffset: 52
; Occupancy: 1
; WaveLimiterHint : 0
; COMPUTE_PGM_RSRC2:SCRATCH_EN: 0
; COMPUTE_PGM_RSRC2:USER_SGPR: 6
; COMPUTE_PGM_RSRC2:TRAP_HANDLER: 0
; COMPUTE_PGM_RSRC2:TGID_X_EN: 1
; COMPUTE_PGM_RSRC2:TGID_Y_EN: 0
; COMPUTE_PGM_RSRC2:TGID_Z_EN: 0
; COMPUTE_PGM_RSRC2:TIDIG_COMP_CNT: 0
; COMPUTE_PGM_RSRC3_GFX90A:ACCUM_OFFSET: 12
; COMPUTE_PGM_RSRC3_GFX90A:TG_SPLIT: 0
	.section	.text._ZN9rocsparseL51gtsv_nopivot_strided_batch_crpcr_pow2_shared_kernelILj256ELj64E21rocsparse_complex_numIdEEEviiiPKT1_S5_S5_PS3_,"axG",@progbits,_ZN9rocsparseL51gtsv_nopivot_strided_batch_crpcr_pow2_shared_kernelILj256ELj64E21rocsparse_complex_numIdEEEviiiPKT1_S5_S5_PS3_,comdat
	.globl	_ZN9rocsparseL51gtsv_nopivot_strided_batch_crpcr_pow2_shared_kernelILj256ELj64E21rocsparse_complex_numIdEEEviiiPKT1_S5_S5_PS3_ ; -- Begin function _ZN9rocsparseL51gtsv_nopivot_strided_batch_crpcr_pow2_shared_kernelILj256ELj64E21rocsparse_complex_numIdEEEviiiPKT1_S5_S5_PS3_
	.p2align	8
	.type	_ZN9rocsparseL51gtsv_nopivot_strided_batch_crpcr_pow2_shared_kernelILj256ELj64E21rocsparse_complex_numIdEEEviiiPKT1_S5_S5_PS3_,@function
_ZN9rocsparseL51gtsv_nopivot_strided_batch_crpcr_pow2_shared_kernelILj256ELj64E21rocsparse_complex_numIdEEEviiiPKT1_S5_S5_PS3_: ; @_ZN9rocsparseL51gtsv_nopivot_strided_batch_crpcr_pow2_shared_kernelILj256ELj64E21rocsparse_complex_numIdEEEviiiPKT1_S5_S5_PS3_
; %bb.0:
	s_load_dword s0, s[4:5], 0x8
	s_load_dwordx8 s[8:15], s[4:5], 0x10
	v_lshlrev_b32_e32 v22, 4, v0
	v_or_b32_e32 v23, 0x5000, v22
	v_or_b32_e32 v44, 0x8000, v22
	s_waitcnt lgkmcnt(0)
	s_mul_i32 s6, s6, s0
	v_add_u32_e32 v2, s6, v0
	v_ashrrev_i32_e32 v3, 31, v2
	v_lshlrev_b64 v[4:5], 4, v[2:3]
	v_mov_b32_e32 v1, s9
	v_add_co_u32_e32 v14, vcc, s8, v4
	v_add_u32_e32 v2, 0x100, v2
	v_mov_b32_e32 v3, 0
	v_addc_co_u32_e32 v15, vcc, v1, v5, vcc
	v_lshlrev_b64 v[2:3], 4, v[2:3]
	v_add_co_u32_e32 v16, vcc, s8, v2
	v_addc_co_u32_e32 v17, vcc, v1, v3, vcc
	v_mov_b32_e32 v1, s11
	v_add_co_u32_e32 v18, vcc, s10, v4
	v_addc_co_u32_e32 v19, vcc, v1, v5, vcc
	v_add_co_u32_e32 v20, vcc, s10, v2
	v_addc_co_u32_e32 v21, vcc, v1, v3, vcc
	global_load_dwordx4 v[6:9], v[14:15], off
	global_load_dwordx4 v[10:13], v[16:17], off
	s_nop 0
	global_load_dwordx4 v[14:17], v[18:19], off
	global_load_dwordx4 v[24:27], v[20:21], off
	v_mov_b32_e32 v1, s13
	v_add_co_u32_e32 v18, vcc, s12, v4
	v_addc_co_u32_e32 v19, vcc, v1, v5, vcc
	v_add_co_u32_e32 v20, vcc, s12, v2
	v_addc_co_u32_e32 v21, vcc, v1, v3, vcc
	global_load_dwordx4 v[28:31], v[18:19], off
	global_load_dwordx4 v[32:35], v[20:21], off
	v_mov_b32_e32 v1, s15
	v_add_co_u32_e32 v18, vcc, s14, v4
	v_addc_co_u32_e32 v19, vcc, v1, v5, vcc
	v_add_co_u32_e32 v20, vcc, s14, v2
	v_addc_co_u32_e32 v21, vcc, v1, v3, vcc
	global_load_dwordx4 v[36:39], v[18:19], off
	global_load_dwordx4 v[40:43], v[20:21], off
	s_movk_i32 s0, 0x100
	v_add_u32_e32 v4, 1, v0
	v_cmp_gt_u32_e64 s[0:1], s0, v0
	v_or_b32_e32 v1, 0x1000, v22
	v_or_b32_e32 v2, 0x2000, v22
	;; [unrolled: 1-line block ×5, first 2 shown]
	s_waitcnt vmcnt(7)
	ds_write2_b64 v22, v[6:7], v[8:9] offset1:1
	s_waitcnt vmcnt(6)
	ds_write2_b64 v1, v[10:11], v[12:13] offset1:1
	s_waitcnt vmcnt(5)
	ds_write2_b64 v2, v[14:15], v[16:17] offset1:1
	s_waitcnt vmcnt(4)
	ds_write2_b64 v3, v[24:25], v[26:27] offset1:1
	s_waitcnt vmcnt(3)
	ds_write2_b64 v5, v[28:29], v[30:31] offset1:1
	s_waitcnt vmcnt(2)
	ds_write2_b64 v23, v[32:33], v[34:35] offset1:1
	s_waitcnt vmcnt(1)
	ds_write2_b64 v44, v[36:37], v[38:39] offset1:1
	s_waitcnt vmcnt(0)
	ds_write2_b64 v45, v[40:41], v[42:43] offset1:1
	s_waitcnt lgkmcnt(0)
	s_barrier
	s_and_saveexec_b64 s[2:3], s[0:1]
	s_cbranch_execz .LBB71_2
; %bb.1:
	v_lshlrev_b32_e32 v1, 5, v4
	ds_read_b128 v[6:9], v1 offset:8160
	ds_read_b128 v[10:13], v1 offset:8176
	v_lshlrev_b32_e32 v5, 1, v4
	v_min_u32_e32 v5, 0x1ff, v5
	v_add_u32_e32 v23, -16, v1
	s_waitcnt lgkmcnt(1)
	v_mul_f64 v[2:3], v[8:9], v[8:9]
	v_fmac_f64_e32 v[2:3], v[6:7], v[6:7]
	v_div_scale_f64 v[14:15], s[4:5], v[2:3], v[2:3], 1.0
	v_rcp_f64_e32 v[16:17], v[14:15]
	v_subrev_u32_e32 v28, 32, v1
	v_lshlrev_b32_e32 v5, 4, v5
	v_fma_f64 v[24:25], -v[14:15], v[16:17], 1.0
	v_fmac_f64_e32 v[16:17], v[16:17], v[24:25]
	v_fma_f64 v[24:25], -v[14:15], v[16:17], 1.0
	v_fmac_f64_e32 v[16:17], v[16:17], v[24:25]
	v_div_scale_f64 v[24:25], vcc, 1.0, v[2:3], 1.0
	v_mul_f64 v[26:27], v[24:25], v[16:17]
	v_fma_f64 v[14:15], -v[14:15], v[26:27], v[24:25]
	s_nop 1
	v_div_fmas_f64 v[24:25], v[14:15], v[16:17], v[26:27]
	ds_read_b128 v[14:17], v23
	v_div_fixup_f64 v[2:3], v[24:25], v[2:3], 1.0
	ds_read_b128 v[24:27], v28
	ds_read_b128 v[28:31], v5 offset:8192
	s_waitcnt lgkmcnt(2)
	v_mul_f64 v[32:33], v[8:9], v[16:17]
	v_mul_f64 v[8:9], v[8:9], -v[14:15]
	s_waitcnt lgkmcnt(0)
	v_mul_f64 v[38:39], v[30:31], v[30:31]
	v_fmac_f64_e32 v[38:39], v[28:29], v[28:29]
	v_div_scale_f64 v[40:41], s[4:5], v[38:39], v[38:39], 1.0
	v_rcp_f64_e32 v[42:43], v[40:41]
	v_fmac_f64_e32 v[32:33], v[14:15], v[6:7]
	v_fmac_f64_e32 v[8:9], v[16:17], v[6:7]
	v_mul_f64 v[36:37], v[2:3], v[32:33]
	v_fma_f64 v[6:7], -v[40:41], v[42:43], 1.0
	v_fmac_f64_e32 v[42:43], v[42:43], v[6:7]
	v_fma_f64 v[6:7], -v[40:41], v[42:43], 1.0
	v_fmac_f64_e32 v[42:43], v[42:43], v[6:7]
	v_div_scale_f64 v[6:7], vcc, 1.0, v[38:39], 1.0
	v_mul_f64 v[14:15], v[6:7], v[42:43]
	v_mul_f64 v[2:3], v[2:3], v[8:9]
	v_fma_f64 v[16:17], -v[40:41], v[14:15], v[6:7]
	ds_read_b128 v[6:9], v1 offset:16368
	v_div_fmas_f64 v[14:15], v[16:17], v[42:43], v[14:15]
	v_div_fixup_f64 v[38:39], v[14:15], v[38:39], 1.0
	ds_read_b128 v[14:17], v1 offset:16352
	ds_read_b128 v[32:35], v5 offset:16384
	s_waitcnt lgkmcnt(2)
	v_mul_f64 v[40:41], v[30:31], v[8:9]
	v_fmac_f64_e32 v[40:41], v[6:7], v[28:29]
	v_mul_f64 v[6:7], v[30:31], -v[6:7]
	v_fmac_f64_e32 v[6:7], v[8:9], v[28:29]
	v_mul_f64 v[28:29], v[38:39], v[6:7]
	ds_read_b128 v[6:9], v5
	s_waitcnt lgkmcnt(2)
	v_mul_f64 v[30:31], v[2:3], -v[16:17]
	v_fmac_f64_e32 v[30:31], v[14:15], v[36:37]
	v_mul_f64 v[14:15], v[2:3], v[14:15]
	v_fmac_f64_e32 v[14:15], v[16:17], v[36:37]
	v_mul_f64 v[40:41], v[38:39], v[40:41]
	v_add_f64 v[16:17], v[10:11], -v[30:31]
	v_add_f64 v[30:31], v[12:13], -v[14:15]
	ds_read_b128 v[10:13], v5 offset:32768
	s_waitcnt lgkmcnt(1)
	v_mul_f64 v[14:15], v[28:29], -v[8:9]
	v_mul_f64 v[38:39], v[28:29], v[6:7]
	v_fmac_f64_e32 v[14:15], v[6:7], v[40:41]
	v_fmac_f64_e32 v[38:39], v[8:9], v[40:41]
	ds_read_b128 v[6:9], v1 offset:32736
	v_add_f64 v[14:15], v[16:17], -v[14:15]
	v_add_f64 v[16:17], v[30:31], -v[38:39]
	ds_write_b128 v1, v[14:17] offset:8176
	ds_read_b128 v[14:17], v1 offset:32752
	s_waitcnt lgkmcnt(2)
	v_mul_f64 v[30:31], v[2:3], -v[8:9]
	v_fmac_f64_e32 v[30:31], v[6:7], v[36:37]
	v_mul_f64 v[6:7], v[2:3], v[6:7]
	v_fmac_f64_e32 v[6:7], v[8:9], v[36:37]
	s_waitcnt lgkmcnt(0)
	v_add_f64 v[8:9], v[14:15], -v[30:31]
	v_add_f64 v[14:15], v[16:17], -v[6:7]
	v_mul_f64 v[6:7], v[28:29], -v[12:13]
	v_fmac_f64_e32 v[6:7], v[10:11], v[40:41]
	v_mul_f64 v[10:11], v[28:29], v[10:11]
	v_fmac_f64_e32 v[10:11], v[12:13], v[40:41]
	v_add_f64 v[6:7], v[8:9], -v[6:7]
	v_add_f64 v[8:9], v[14:15], -v[10:11]
	ds_write_b128 v1, v[6:9] offset:32752
	v_mul_f64 v[6:7], v[2:3], v[26:27]
	v_mul_f64 v[2:3], v[2:3], -v[24:25]
	v_fma_f64 v[6:7], -v[24:25], v[36:37], v[6:7]
	v_fma_f64 v[8:9], -v[26:27], v[36:37], v[2:3]
	v_mul_f64 v[2:3], v[28:29], v[34:35]
	ds_write_b128 v23, v[6:9]
	v_fma_f64 v[6:7], -v[32:33], v[40:41], v[2:3]
	v_mul_f64 v[2:3], v[28:29], -v[32:33]
	v_fma_f64 v[8:9], -v[34:35], v[40:41], v[2:3]
	ds_write_b128 v1, v[6:9] offset:16368
.LBB71_2:
	s_or_b64 exec, exec, s[2:3]
	s_movk_i32 s2, 0x80
	v_cmp_gt_u32_e64 s[2:3], s2, v0
	s_waitcnt lgkmcnt(0)
	s_barrier
	s_and_saveexec_b64 s[4:5], s[2:3]
	s_cbranch_execz .LBB71_4
; %bb.3:
	v_lshlrev_b32_e32 v1, 6, v4
	ds_read_b128 v[6:9], v1 offset:8144
	ds_read_b128 v[10:13], v1 offset:8176
	v_lshl_or_b32 v5, v4, 2, 1
	v_min_u32_e32 v5, 0x1ff, v5
	v_add_u32_e32 v23, -16, v1
	s_waitcnt lgkmcnt(1)
	v_mul_f64 v[2:3], v[8:9], v[8:9]
	v_fmac_f64_e32 v[2:3], v[6:7], v[6:7]
	v_div_scale_f64 v[14:15], s[6:7], v[2:3], v[2:3], 1.0
	v_rcp_f64_e32 v[16:17], v[14:15]
	v_subrev_u32_e32 v28, 48, v1
	v_lshlrev_b32_e32 v5, 4, v5
	v_fma_f64 v[24:25], -v[14:15], v[16:17], 1.0
	v_fmac_f64_e32 v[16:17], v[16:17], v[24:25]
	v_fma_f64 v[24:25], -v[14:15], v[16:17], 1.0
	v_fmac_f64_e32 v[16:17], v[16:17], v[24:25]
	v_div_scale_f64 v[24:25], vcc, 1.0, v[2:3], 1.0
	v_mul_f64 v[26:27], v[24:25], v[16:17]
	v_fma_f64 v[14:15], -v[14:15], v[26:27], v[24:25]
	s_nop 1
	v_div_fmas_f64 v[24:25], v[14:15], v[16:17], v[26:27]
	ds_read_b128 v[14:17], v23
	v_div_fixup_f64 v[2:3], v[24:25], v[2:3], 1.0
	ds_read_b128 v[24:27], v28
	ds_read_b128 v[28:31], v5 offset:8192
	s_waitcnt lgkmcnt(2)
	v_mul_f64 v[32:33], v[8:9], v[16:17]
	v_mul_f64 v[8:9], v[8:9], -v[14:15]
	s_waitcnt lgkmcnt(0)
	v_mul_f64 v[38:39], v[30:31], v[30:31]
	v_fmac_f64_e32 v[38:39], v[28:29], v[28:29]
	v_div_scale_f64 v[40:41], s[6:7], v[38:39], v[38:39], 1.0
	v_rcp_f64_e32 v[42:43], v[40:41]
	v_fmac_f64_e32 v[32:33], v[14:15], v[6:7]
	v_fmac_f64_e32 v[8:9], v[16:17], v[6:7]
	v_mul_f64 v[36:37], v[2:3], v[32:33]
	v_fma_f64 v[6:7], -v[40:41], v[42:43], 1.0
	v_fmac_f64_e32 v[42:43], v[42:43], v[6:7]
	v_fma_f64 v[6:7], -v[40:41], v[42:43], 1.0
	v_fmac_f64_e32 v[42:43], v[42:43], v[6:7]
	v_div_scale_f64 v[6:7], vcc, 1.0, v[38:39], 1.0
	v_mul_f64 v[14:15], v[6:7], v[42:43]
	v_mul_f64 v[2:3], v[2:3], v[8:9]
	v_fma_f64 v[16:17], -v[40:41], v[14:15], v[6:7]
	ds_read_b128 v[6:9], v1 offset:16368
	v_div_fmas_f64 v[14:15], v[16:17], v[42:43], v[14:15]
	v_div_fixup_f64 v[38:39], v[14:15], v[38:39], 1.0
	ds_read_b128 v[14:17], v1 offset:16336
	ds_read_b128 v[32:35], v5 offset:16384
	s_waitcnt lgkmcnt(2)
	v_mul_f64 v[40:41], v[30:31], v[8:9]
	v_fmac_f64_e32 v[40:41], v[6:7], v[28:29]
	v_mul_f64 v[6:7], v[30:31], -v[6:7]
	v_fmac_f64_e32 v[6:7], v[8:9], v[28:29]
	v_mul_f64 v[28:29], v[38:39], v[6:7]
	ds_read_b128 v[6:9], v5
	s_waitcnt lgkmcnt(2)
	v_mul_f64 v[30:31], v[2:3], -v[16:17]
	v_fmac_f64_e32 v[30:31], v[14:15], v[36:37]
	v_mul_f64 v[14:15], v[2:3], v[14:15]
	v_fmac_f64_e32 v[14:15], v[16:17], v[36:37]
	v_mul_f64 v[40:41], v[38:39], v[40:41]
	v_add_f64 v[16:17], v[10:11], -v[30:31]
	v_add_f64 v[30:31], v[12:13], -v[14:15]
	ds_read_b128 v[10:13], v5 offset:32768
	s_waitcnt lgkmcnt(1)
	v_mul_f64 v[14:15], v[28:29], -v[8:9]
	v_mul_f64 v[38:39], v[28:29], v[6:7]
	v_fmac_f64_e32 v[14:15], v[6:7], v[40:41]
	v_fmac_f64_e32 v[38:39], v[8:9], v[40:41]
	ds_read_b128 v[6:9], v1 offset:32720
	v_add_f64 v[14:15], v[16:17], -v[14:15]
	v_add_f64 v[16:17], v[30:31], -v[38:39]
	ds_write_b128 v1, v[14:17] offset:8176
	ds_read_b128 v[14:17], v1 offset:32752
	s_waitcnt lgkmcnt(2)
	v_mul_f64 v[30:31], v[2:3], -v[8:9]
	v_fmac_f64_e32 v[30:31], v[6:7], v[36:37]
	v_mul_f64 v[6:7], v[2:3], v[6:7]
	v_fmac_f64_e32 v[6:7], v[8:9], v[36:37]
	s_waitcnt lgkmcnt(0)
	v_add_f64 v[8:9], v[14:15], -v[30:31]
	v_add_f64 v[14:15], v[16:17], -v[6:7]
	v_mul_f64 v[6:7], v[28:29], -v[12:13]
	v_fmac_f64_e32 v[6:7], v[10:11], v[40:41]
	v_mul_f64 v[10:11], v[28:29], v[10:11]
	v_fmac_f64_e32 v[10:11], v[12:13], v[40:41]
	v_add_f64 v[6:7], v[8:9], -v[6:7]
	v_add_f64 v[8:9], v[14:15], -v[10:11]
	ds_write_b128 v1, v[6:9] offset:32752
	v_mul_f64 v[6:7], v[2:3], v[26:27]
	v_mul_f64 v[2:3], v[2:3], -v[24:25]
	v_fma_f64 v[6:7], -v[24:25], v[36:37], v[6:7]
	v_fma_f64 v[8:9], -v[26:27], v[36:37], v[2:3]
	v_mul_f64 v[2:3], v[28:29], v[34:35]
	ds_write_b128 v23, v[6:9]
	v_fma_f64 v[6:7], -v[32:33], v[40:41], v[2:3]
	v_mul_f64 v[2:3], v[28:29], -v[32:33]
	v_fma_f64 v[8:9], -v[34:35], v[40:41], v[2:3]
	ds_write_b128 v1, v[6:9] offset:16368
.LBB71_4:
	s_or_b64 exec, exec, s[4:5]
	v_cmp_gt_u32_e64 s[4:5], 64, v0
	v_lshlrev_b32_e32 v1, 7, v4
	s_waitcnt lgkmcnt(0)
	s_barrier
	s_and_saveexec_b64 s[6:7], s[4:5]
	s_cbranch_execz .LBB71_6
; %bb.5:
	ds_read_b128 v[6:9], v1 offset:8112
	ds_read_b128 v[10:13], v1 offset:8176
	v_lshl_or_b32 v5, v4, 3, 3
	v_add_u32_e32 v23, -16, v1
	v_add_u32_e32 v28, 0xffffffb0, v1
	s_waitcnt lgkmcnt(1)
	v_mul_f64 v[2:3], v[8:9], v[8:9]
	v_fmac_f64_e32 v[2:3], v[6:7], v[6:7]
	v_div_scale_f64 v[14:15], s[8:9], v[2:3], v[2:3], 1.0
	v_rcp_f64_e32 v[16:17], v[14:15]
	v_min_u32_e32 v5, 0x1ff, v5
	v_lshlrev_b32_e32 v5, 4, v5
	v_fma_f64 v[24:25], -v[14:15], v[16:17], 1.0
	v_fmac_f64_e32 v[16:17], v[16:17], v[24:25]
	v_fma_f64 v[24:25], -v[14:15], v[16:17], 1.0
	v_fmac_f64_e32 v[16:17], v[16:17], v[24:25]
	v_div_scale_f64 v[24:25], vcc, 1.0, v[2:3], 1.0
	v_mul_f64 v[26:27], v[24:25], v[16:17]
	v_fma_f64 v[14:15], -v[14:15], v[26:27], v[24:25]
	s_nop 1
	v_div_fmas_f64 v[24:25], v[14:15], v[16:17], v[26:27]
	ds_read_b128 v[14:17], v23
	v_div_fixup_f64 v[2:3], v[24:25], v[2:3], 1.0
	ds_read_b128 v[24:27], v28
	ds_read_b128 v[28:31], v5 offset:8192
	s_waitcnt lgkmcnt(2)
	v_mul_f64 v[32:33], v[8:9], v[16:17]
	v_mul_f64 v[8:9], v[8:9], -v[14:15]
	s_waitcnt lgkmcnt(0)
	v_mul_f64 v[38:39], v[30:31], v[30:31]
	v_fmac_f64_e32 v[38:39], v[28:29], v[28:29]
	v_div_scale_f64 v[40:41], s[8:9], v[38:39], v[38:39], 1.0
	v_rcp_f64_e32 v[42:43], v[40:41]
	v_fmac_f64_e32 v[32:33], v[14:15], v[6:7]
	v_fmac_f64_e32 v[8:9], v[16:17], v[6:7]
	v_mul_f64 v[36:37], v[2:3], v[32:33]
	v_fma_f64 v[6:7], -v[40:41], v[42:43], 1.0
	v_fmac_f64_e32 v[42:43], v[42:43], v[6:7]
	v_fma_f64 v[6:7], -v[40:41], v[42:43], 1.0
	v_fmac_f64_e32 v[42:43], v[42:43], v[6:7]
	v_div_scale_f64 v[6:7], vcc, 1.0, v[38:39], 1.0
	v_mul_f64 v[14:15], v[6:7], v[42:43]
	v_mul_f64 v[2:3], v[2:3], v[8:9]
	v_fma_f64 v[16:17], -v[40:41], v[14:15], v[6:7]
	ds_read_b128 v[6:9], v1 offset:16368
	v_div_fmas_f64 v[14:15], v[16:17], v[42:43], v[14:15]
	v_div_fixup_f64 v[38:39], v[14:15], v[38:39], 1.0
	ds_read_b128 v[14:17], v1 offset:16304
	ds_read_b128 v[32:35], v5 offset:16384
	s_waitcnt lgkmcnt(2)
	v_mul_f64 v[40:41], v[30:31], v[8:9]
	v_fmac_f64_e32 v[40:41], v[6:7], v[28:29]
	v_mul_f64 v[6:7], v[30:31], -v[6:7]
	v_fmac_f64_e32 v[6:7], v[8:9], v[28:29]
	v_mul_f64 v[28:29], v[38:39], v[6:7]
	ds_read_b128 v[6:9], v5
	s_waitcnt lgkmcnt(2)
	v_mul_f64 v[30:31], v[2:3], -v[16:17]
	v_fmac_f64_e32 v[30:31], v[14:15], v[36:37]
	v_mul_f64 v[14:15], v[2:3], v[14:15]
	v_fmac_f64_e32 v[14:15], v[16:17], v[36:37]
	v_mul_f64 v[40:41], v[38:39], v[40:41]
	v_add_f64 v[16:17], v[10:11], -v[30:31]
	v_add_f64 v[30:31], v[12:13], -v[14:15]
	ds_read_b128 v[10:13], v5 offset:32768
	s_waitcnt lgkmcnt(1)
	v_mul_f64 v[14:15], v[28:29], -v[8:9]
	v_mul_f64 v[38:39], v[28:29], v[6:7]
	v_fmac_f64_e32 v[14:15], v[6:7], v[40:41]
	v_fmac_f64_e32 v[38:39], v[8:9], v[40:41]
	ds_read_b128 v[6:9], v1 offset:32688
	v_add_f64 v[14:15], v[16:17], -v[14:15]
	v_add_f64 v[16:17], v[30:31], -v[38:39]
	ds_write_b128 v1, v[14:17] offset:8176
	ds_read_b128 v[14:17], v1 offset:32752
	s_waitcnt lgkmcnt(2)
	v_mul_f64 v[30:31], v[2:3], -v[8:9]
	v_fmac_f64_e32 v[30:31], v[6:7], v[36:37]
	v_mul_f64 v[6:7], v[2:3], v[6:7]
	v_fmac_f64_e32 v[6:7], v[8:9], v[36:37]
	s_waitcnt lgkmcnt(0)
	v_add_f64 v[8:9], v[14:15], -v[30:31]
	v_add_f64 v[14:15], v[16:17], -v[6:7]
	v_mul_f64 v[6:7], v[28:29], -v[12:13]
	v_fmac_f64_e32 v[6:7], v[10:11], v[40:41]
	v_mul_f64 v[10:11], v[28:29], v[10:11]
	v_fmac_f64_e32 v[10:11], v[12:13], v[40:41]
	v_add_f64 v[6:7], v[8:9], -v[6:7]
	v_add_f64 v[8:9], v[14:15], -v[10:11]
	ds_write_b128 v1, v[6:9] offset:32752
	v_mul_f64 v[6:7], v[2:3], v[26:27]
	v_mul_f64 v[2:3], v[2:3], -v[24:25]
	v_fma_f64 v[6:7], -v[24:25], v[36:37], v[6:7]
	v_fma_f64 v[8:9], -v[26:27], v[36:37], v[2:3]
	v_mul_f64 v[2:3], v[28:29], v[34:35]
	ds_write_b128 v23, v[6:9]
	v_fma_f64 v[6:7], -v[32:33], v[40:41], v[2:3]
	v_mul_f64 v[2:3], v[28:29], -v[32:33]
	v_fma_f64 v[8:9], -v[34:35], v[40:41], v[2:3]
	ds_write_b128 v1, v[6:9] offset:16368
.LBB71_6:
	s_or_b64 exec, exec, s[6:7]
	s_waitcnt lgkmcnt(0)
	s_barrier
	s_and_saveexec_b64 s[6:7], s[4:5]
	s_cbranch_execz .LBB71_8
; %bb.7:
	v_add_u32_e32 v2, -16, v1
	ds_read_b128 v[6:9], v2
	ds_read_b128 v[10:13], v1 offset:8176
	ds_read_b128 v[14:17], v1 offset:16368
	;; [unrolled: 1-line block ×3, first 2 shown]
	s_waitcnt lgkmcnt(3)
	ds_write_b128 v22, v[6:9] offset:40960
	s_waitcnt lgkmcnt(3)
	ds_write_b128 v22, v[10:13] offset:41984
	;; [unrolled: 2-line block ×4, first 2 shown]
.LBB71_8:
	s_or_b64 exec, exec, s[6:7]
	v_or_b32_e32 v25, 0xa000, v22
	v_add_u32_e32 v24, 0xa800, v22
	v_add_u32_e32 v26, 0xa400, v22
	v_or_b32_e32 v23, 0xb000, v22
	s_waitcnt lgkmcnt(0)
	s_barrier
	s_waitcnt lgkmcnt(0)
                                        ; implicit-def: $vgpr6_vgpr7
                                        ; implicit-def: $vgpr14_vgpr15
                                        ; implicit-def: $vgpr2_vgpr3
                                        ; implicit-def: $vgpr10_vgpr11
	s_and_saveexec_b64 s[6:7], s[4:5]
	s_cbranch_execz .LBB71_10
; %bb.9:
	v_max_u32_e32 v2, 1, v0
	v_lshlrev_b32_e32 v27, 4, v2
	ds_read_b128 v[6:9], v27 offset:41968
	ds_read_b128 v[12:15], v27 offset:40944
	v_min_u32_e32 v30, 63, v4
	v_lshlrev_b32_e32 v48, 4, v30
	s_waitcnt lgkmcnt(1)
	v_mul_f64 v[10:11], v[8:9], v[8:9]
	v_fmac_f64_e32 v[10:11], v[6:7], v[6:7]
	v_div_scale_f64 v[2:3], s[8:9], v[10:11], v[10:11], 1.0
	v_rcp_f64_e32 v[16:17], v[2:3]
	v_div_scale_f64 v[4:5], vcc, 1.0, v[10:11], 1.0
	v_fma_f64 v[28:29], -v[2:3], v[16:17], 1.0
	v_fmac_f64_e32 v[16:17], v[16:17], v[28:29]
	v_fma_f64 v[28:29], -v[2:3], v[16:17], 1.0
	v_fmac_f64_e32 v[16:17], v[16:17], v[28:29]
	v_mul_f64 v[28:29], v[4:5], v[16:17]
	v_fma_f64 v[2:3], -v[2:3], v[28:29], v[4:5]
	v_div_fmas_f64 v[16:17], v[2:3], v[16:17], v[28:29]
	ds_read_b128 v[2:5], v25
	ds_read_b128 v[28:31], v24
	ds_read_b128 v[32:35], v48 offset:41984
	v_div_fixup_f64 v[10:11], v[16:17], v[10:11], 1.0
	ds_read_b128 v[36:39], v48 offset:40960
	s_waitcnt lgkmcnt(3)
	v_mul_f64 v[16:17], v[8:9], v[4:5]
	s_waitcnt lgkmcnt(1)
	v_mul_f64 v[40:41], v[34:35], v[34:35]
	v_fmac_f64_e32 v[40:41], v[32:33], v[32:33]
	v_div_scale_f64 v[42:43], s[8:9], v[40:41], v[40:41], 1.0
	v_rcp_f64_e32 v[44:45], v[42:43]
	v_fmac_f64_e32 v[16:17], v[2:3], v[6:7]
	v_mul_f64 v[2:3], v[8:9], -v[2:3]
	v_fmac_f64_e32 v[2:3], v[4:5], v[6:7]
	v_mul_f64 v[46:47], v[10:11], v[2:3]
	v_fma_f64 v[2:3], -v[42:43], v[44:45], 1.0
	v_fmac_f64_e32 v[44:45], v[44:45], v[2:3]
	v_fma_f64 v[2:3], -v[42:43], v[44:45], 1.0
	v_fmac_f64_e32 v[44:45], v[44:45], v[2:3]
	v_div_scale_f64 v[2:3], vcc, 1.0, v[40:41], 1.0
	v_mul_f64 v[4:5], v[2:3], v[44:45]
	v_fma_f64 v[2:3], -v[42:43], v[4:5], v[2:3]
	v_mul_f64 v[8:9], v[34:35], -v[28:29]
	s_nop 0
	v_div_fmas_f64 v[2:3], v[2:3], v[44:45], v[4:5]
	v_div_fixup_f64 v[6:7], v[2:3], v[40:41], 1.0
	v_mul_f64 v[2:3], v[34:35], v[30:31]
	v_fmac_f64_e32 v[2:3], v[28:29], v[32:33]
	v_mul_f64 v[40:41], v[6:7], v[2:3]
	ds_read_b128 v[2:5], v27 offset:42992
	v_fmac_f64_e32 v[8:9], v[30:31], v[32:33]
	ds_read_b128 v[28:31], v26
	ds_read_b128 v[32:35], v23
	v_mul_f64 v[16:17], v[10:11], v[16:17]
	v_mul_f64 v[42:43], v[6:7], v[8:9]
	ds_read_b128 v[6:9], v27 offset:45040
	s_waitcnt lgkmcnt(3)
	v_mul_f64 v[10:11], v[46:47], -v[4:5]
	v_fmac_f64_e32 v[10:11], v[2:3], v[16:17]
	v_mul_f64 v[2:3], v[46:47], v[2:3]
	v_fmac_f64_e32 v[2:3], v[4:5], v[16:17]
	s_waitcnt lgkmcnt(2)
	v_add_f64 v[4:5], v[28:29], -v[10:11]
	v_add_f64 v[10:11], v[30:31], -v[2:3]
	v_mul_f64 v[2:3], v[42:43], -v[38:39]
	v_mul_f64 v[28:29], v[42:43], v[36:37]
	v_fmac_f64_e32 v[2:3], v[36:37], v[40:41]
	v_fmac_f64_e32 v[28:29], v[38:39], v[40:41]
	v_add_f64 v[2:3], v[4:5], -v[2:3]
	v_add_f64 v[4:5], v[10:11], -v[28:29]
	ds_read_b128 v[28:31], v48 offset:45056
	s_waitcnt lgkmcnt(1)
	v_mul_f64 v[10:11], v[46:47], -v[8:9]
	v_fmac_f64_e32 v[10:11], v[6:7], v[16:17]
	v_mul_f64 v[6:7], v[46:47], v[6:7]
	v_fmac_f64_e32 v[6:7], v[8:9], v[16:17]
	v_add_f64 v[8:9], v[32:33], -v[10:11]
	v_add_f64 v[10:11], v[34:35], -v[6:7]
	ds_read_b128 v[32:35], v48 offset:43008
	s_waitcnt lgkmcnt(1)
	v_mul_f64 v[6:7], v[42:43], -v[30:31]
	v_fmac_f64_e32 v[6:7], v[28:29], v[40:41]
	v_mul_f64 v[28:29], v[42:43], v[28:29]
	v_fmac_f64_e32 v[28:29], v[30:31], v[40:41]
	v_add_f64 v[6:7], v[8:9], -v[6:7]
	v_add_f64 v[8:9], v[10:11], -v[28:29]
	v_mul_f64 v[10:11], v[46:47], v[14:15]
	v_fma_f64 v[10:11], -v[12:13], v[16:17], v[10:11]
	v_mul_f64 v[12:13], v[46:47], -v[12:13]
	v_fma_f64 v[12:13], -v[14:15], v[16:17], v[12:13]
	s_waitcnt lgkmcnt(0)
	v_mul_f64 v[14:15], v[42:43], v[34:35]
	v_mul_f64 v[16:17], v[42:43], -v[32:33]
	v_fma_f64 v[14:15], -v[32:33], v[40:41], v[14:15]
	v_fma_f64 v[16:17], -v[34:35], v[40:41], v[16:17]
.LBB71_10:
	s_or_b64 exec, exec, s[6:7]
	s_barrier
	s_and_saveexec_b64 s[6:7], s[4:5]
	s_cbranch_execz .LBB71_12
; %bb.11:
	ds_write_b128 v26, v[2:5]
	ds_write_b128 v23, v[6:9]
	;; [unrolled: 1-line block ×4, first 2 shown]
.LBB71_12:
	s_or_b64 exec, exec, s[6:7]
	s_waitcnt lgkmcnt(0)
	s_barrier
	s_and_saveexec_b64 s[6:7], s[4:5]
	s_cbranch_execz .LBB71_14
; %bb.13:
	v_max_u32_e32 v2, 2, v0
	v_lshlrev_b32_e32 v27, 4, v2
	ds_read_b128 v[2:5], v27 offset:41952
	ds_read_b128 v[12:15], v27 offset:40928
	v_min_u32_e32 v30, 61, v0
	v_lshlrev_b32_e32 v48, 4, v30
	s_waitcnt lgkmcnt(1)
	v_mul_f64 v[10:11], v[4:5], v[4:5]
	v_fmac_f64_e32 v[10:11], v[2:3], v[2:3]
	v_div_scale_f64 v[6:7], s[8:9], v[10:11], v[10:11], 1.0
	v_rcp_f64_e32 v[8:9], v[6:7]
	v_div_scale_f64 v[16:17], vcc, 1.0, v[10:11], 1.0
	v_fma_f64 v[28:29], -v[6:7], v[8:9], 1.0
	v_fmac_f64_e32 v[8:9], v[8:9], v[28:29]
	v_fma_f64 v[28:29], -v[6:7], v[8:9], 1.0
	v_fmac_f64_e32 v[8:9], v[8:9], v[28:29]
	v_mul_f64 v[28:29], v[16:17], v[8:9]
	v_fma_f64 v[6:7], -v[6:7], v[28:29], v[16:17]
	v_div_fmas_f64 v[16:17], v[6:7], v[8:9], v[28:29]
	ds_read_b128 v[6:9], v25
	ds_read_b128 v[28:31], v24
	ds_read_b128 v[32:35], v48 offset:42016
	v_div_fixup_f64 v[10:11], v[16:17], v[10:11], 1.0
	ds_read_b128 v[36:39], v48 offset:40992
	s_waitcnt lgkmcnt(3)
	v_mul_f64 v[16:17], v[4:5], v[8:9]
	s_waitcnt lgkmcnt(1)
	v_mul_f64 v[40:41], v[34:35], v[34:35]
	v_fmac_f64_e32 v[40:41], v[32:33], v[32:33]
	v_div_scale_f64 v[42:43], s[8:9], v[40:41], v[40:41], 1.0
	v_rcp_f64_e32 v[44:45], v[42:43]
	v_mul_f64 v[4:5], v[4:5], -v[6:7]
	v_fmac_f64_e32 v[16:17], v[6:7], v[2:3]
	v_fmac_f64_e32 v[4:5], v[8:9], v[2:3]
	v_fma_f64 v[2:3], -v[42:43], v[44:45], 1.0
	v_fmac_f64_e32 v[44:45], v[44:45], v[2:3]
	v_fma_f64 v[2:3], -v[42:43], v[44:45], 1.0
	v_fmac_f64_e32 v[44:45], v[44:45], v[2:3]
	v_div_scale_f64 v[2:3], vcc, 1.0, v[40:41], 1.0
	v_mul_f64 v[46:47], v[10:11], v[4:5]
	v_mul_f64 v[4:5], v[2:3], v[44:45]
	v_fma_f64 v[2:3], -v[42:43], v[4:5], v[2:3]
	s_nop 0
	v_div_fmas_f64 v[2:3], v[2:3], v[44:45], v[4:5]
	v_div_fixup_f64 v[6:7], v[2:3], v[40:41], 1.0
	v_mul_f64 v[2:3], v[34:35], v[30:31]
	v_fmac_f64_e32 v[2:3], v[28:29], v[32:33]
	v_mul_f64 v[40:41], v[6:7], v[2:3]
	ds_read_b128 v[2:5], v27 offset:42976
	v_mul_f64 v[8:9], v[34:35], -v[28:29]
	v_fmac_f64_e32 v[8:9], v[30:31], v[32:33]
	ds_read_b128 v[28:31], v26
	ds_read_b128 v[32:35], v23
	v_mul_f64 v[16:17], v[10:11], v[16:17]
	v_mul_f64 v[42:43], v[6:7], v[8:9]
	ds_read_b128 v[6:9], v27 offset:45024
	s_waitcnt lgkmcnt(3)
	v_mul_f64 v[10:11], v[46:47], -v[4:5]
	v_fmac_f64_e32 v[10:11], v[2:3], v[16:17]
	v_mul_f64 v[2:3], v[46:47], v[2:3]
	v_fmac_f64_e32 v[2:3], v[4:5], v[16:17]
	s_waitcnt lgkmcnt(2)
	v_add_f64 v[4:5], v[28:29], -v[10:11]
	v_add_f64 v[10:11], v[30:31], -v[2:3]
	v_mul_f64 v[2:3], v[42:43], -v[38:39]
	v_mul_f64 v[28:29], v[42:43], v[36:37]
	v_fmac_f64_e32 v[2:3], v[36:37], v[40:41]
	v_fmac_f64_e32 v[28:29], v[38:39], v[40:41]
	v_add_f64 v[2:3], v[4:5], -v[2:3]
	v_add_f64 v[4:5], v[10:11], -v[28:29]
	ds_read_b128 v[28:31], v48 offset:45088
	s_waitcnt lgkmcnt(1)
	v_mul_f64 v[10:11], v[46:47], -v[8:9]
	v_fmac_f64_e32 v[10:11], v[6:7], v[16:17]
	v_mul_f64 v[6:7], v[46:47], v[6:7]
	v_fmac_f64_e32 v[6:7], v[8:9], v[16:17]
	v_add_f64 v[8:9], v[32:33], -v[10:11]
	v_add_f64 v[10:11], v[34:35], -v[6:7]
	ds_read_b128 v[32:35], v48 offset:43040
	s_waitcnt lgkmcnt(1)
	v_mul_f64 v[6:7], v[42:43], -v[30:31]
	v_fmac_f64_e32 v[6:7], v[28:29], v[40:41]
	v_mul_f64 v[28:29], v[42:43], v[28:29]
	v_fmac_f64_e32 v[28:29], v[30:31], v[40:41]
	v_add_f64 v[6:7], v[8:9], -v[6:7]
	v_add_f64 v[8:9], v[10:11], -v[28:29]
	v_mul_f64 v[10:11], v[46:47], v[14:15]
	v_fma_f64 v[10:11], -v[12:13], v[16:17], v[10:11]
	v_mul_f64 v[12:13], v[46:47], -v[12:13]
	v_fma_f64 v[12:13], -v[14:15], v[16:17], v[12:13]
	s_waitcnt lgkmcnt(0)
	v_mul_f64 v[14:15], v[42:43], v[34:35]
	v_mul_f64 v[16:17], v[42:43], -v[32:33]
	v_fma_f64 v[14:15], -v[32:33], v[40:41], v[14:15]
	v_fma_f64 v[16:17], -v[34:35], v[40:41], v[16:17]
.LBB71_14:
	s_or_b64 exec, exec, s[6:7]
	s_barrier
	s_and_saveexec_b64 s[6:7], s[4:5]
	s_cbranch_execz .LBB71_16
; %bb.15:
	ds_write_b128 v26, v[2:5]
	ds_write_b128 v23, v[6:9]
	;; [unrolled: 1-line block ×4, first 2 shown]
.LBB71_16:
	s_or_b64 exec, exec, s[6:7]
	s_waitcnt lgkmcnt(0)
	s_barrier
	s_and_saveexec_b64 s[6:7], s[4:5]
	s_cbranch_execz .LBB71_18
; %bb.17:
	v_max_u32_e32 v2, 4, v0
	v_lshlrev_b32_e32 v27, 4, v2
	ds_read_b128 v[2:5], v27 offset:41920
	ds_read_b128 v[12:15], v27 offset:40896
	v_min_u32_e32 v30, 59, v0
	v_lshlrev_b32_e32 v48, 4, v30
	s_waitcnt lgkmcnt(1)
	v_mul_f64 v[10:11], v[4:5], v[4:5]
	v_fmac_f64_e32 v[10:11], v[2:3], v[2:3]
	v_div_scale_f64 v[6:7], s[8:9], v[10:11], v[10:11], 1.0
	v_rcp_f64_e32 v[8:9], v[6:7]
	v_div_scale_f64 v[16:17], vcc, 1.0, v[10:11], 1.0
	v_fma_f64 v[28:29], -v[6:7], v[8:9], 1.0
	v_fmac_f64_e32 v[8:9], v[8:9], v[28:29]
	v_fma_f64 v[28:29], -v[6:7], v[8:9], 1.0
	v_fmac_f64_e32 v[8:9], v[8:9], v[28:29]
	v_mul_f64 v[28:29], v[16:17], v[8:9]
	v_fma_f64 v[6:7], -v[6:7], v[28:29], v[16:17]
	v_div_fmas_f64 v[16:17], v[6:7], v[8:9], v[28:29]
	ds_read_b128 v[6:9], v25
	ds_read_b128 v[28:31], v24
	ds_read_b128 v[32:35], v48 offset:42048
	v_div_fixup_f64 v[10:11], v[16:17], v[10:11], 1.0
	ds_read_b128 v[36:39], v48 offset:41024
	s_waitcnt lgkmcnt(3)
	v_mul_f64 v[16:17], v[4:5], v[8:9]
	s_waitcnt lgkmcnt(1)
	v_mul_f64 v[40:41], v[34:35], v[34:35]
	v_fmac_f64_e32 v[40:41], v[32:33], v[32:33]
	v_div_scale_f64 v[42:43], s[8:9], v[40:41], v[40:41], 1.0
	v_rcp_f64_e32 v[44:45], v[42:43]
	v_mul_f64 v[4:5], v[4:5], -v[6:7]
	v_fmac_f64_e32 v[16:17], v[6:7], v[2:3]
	v_fmac_f64_e32 v[4:5], v[8:9], v[2:3]
	v_fma_f64 v[2:3], -v[42:43], v[44:45], 1.0
	v_fmac_f64_e32 v[44:45], v[44:45], v[2:3]
	v_fma_f64 v[2:3], -v[42:43], v[44:45], 1.0
	v_fmac_f64_e32 v[44:45], v[44:45], v[2:3]
	v_div_scale_f64 v[2:3], vcc, 1.0, v[40:41], 1.0
	v_mul_f64 v[46:47], v[10:11], v[4:5]
	v_mul_f64 v[4:5], v[2:3], v[44:45]
	v_fma_f64 v[2:3], -v[42:43], v[4:5], v[2:3]
	s_nop 0
	v_div_fmas_f64 v[2:3], v[2:3], v[44:45], v[4:5]
	v_div_fixup_f64 v[6:7], v[2:3], v[40:41], 1.0
	v_mul_f64 v[2:3], v[34:35], v[30:31]
	v_fmac_f64_e32 v[2:3], v[28:29], v[32:33]
	v_mul_f64 v[40:41], v[6:7], v[2:3]
	ds_read_b128 v[2:5], v27 offset:42944
	v_mul_f64 v[8:9], v[34:35], -v[28:29]
	v_fmac_f64_e32 v[8:9], v[30:31], v[32:33]
	ds_read_b128 v[28:31], v26
	ds_read_b128 v[32:35], v23
	v_mul_f64 v[16:17], v[10:11], v[16:17]
	v_mul_f64 v[42:43], v[6:7], v[8:9]
	ds_read_b128 v[6:9], v27 offset:44992
	s_waitcnt lgkmcnt(3)
	v_mul_f64 v[10:11], v[46:47], -v[4:5]
	v_fmac_f64_e32 v[10:11], v[2:3], v[16:17]
	v_mul_f64 v[2:3], v[46:47], v[2:3]
	v_fmac_f64_e32 v[2:3], v[4:5], v[16:17]
	s_waitcnt lgkmcnt(2)
	v_add_f64 v[4:5], v[28:29], -v[10:11]
	v_add_f64 v[10:11], v[30:31], -v[2:3]
	v_mul_f64 v[2:3], v[42:43], -v[38:39]
	v_mul_f64 v[28:29], v[42:43], v[36:37]
	v_fmac_f64_e32 v[2:3], v[36:37], v[40:41]
	v_fmac_f64_e32 v[28:29], v[38:39], v[40:41]
	v_add_f64 v[2:3], v[4:5], -v[2:3]
	v_add_f64 v[4:5], v[10:11], -v[28:29]
	ds_read_b128 v[28:31], v48 offset:45120
	s_waitcnt lgkmcnt(1)
	v_mul_f64 v[10:11], v[46:47], -v[8:9]
	v_fmac_f64_e32 v[10:11], v[6:7], v[16:17]
	v_mul_f64 v[6:7], v[46:47], v[6:7]
	v_fmac_f64_e32 v[6:7], v[8:9], v[16:17]
	v_add_f64 v[8:9], v[32:33], -v[10:11]
	v_add_f64 v[10:11], v[34:35], -v[6:7]
	ds_read_b128 v[32:35], v48 offset:43072
	s_waitcnt lgkmcnt(1)
	v_mul_f64 v[6:7], v[42:43], -v[30:31]
	v_fmac_f64_e32 v[6:7], v[28:29], v[40:41]
	v_mul_f64 v[28:29], v[42:43], v[28:29]
	v_fmac_f64_e32 v[28:29], v[30:31], v[40:41]
	v_add_f64 v[6:7], v[8:9], -v[6:7]
	v_add_f64 v[8:9], v[10:11], -v[28:29]
	v_mul_f64 v[10:11], v[46:47], v[14:15]
	v_fma_f64 v[10:11], -v[12:13], v[16:17], v[10:11]
	v_mul_f64 v[12:13], v[46:47], -v[12:13]
	v_fma_f64 v[12:13], -v[14:15], v[16:17], v[12:13]
	s_waitcnt lgkmcnt(0)
	v_mul_f64 v[14:15], v[42:43], v[34:35]
	v_mul_f64 v[16:17], v[42:43], -v[32:33]
	v_fma_f64 v[14:15], -v[32:33], v[40:41], v[14:15]
	v_fma_f64 v[16:17], -v[34:35], v[40:41], v[16:17]
.LBB71_18:
	s_or_b64 exec, exec, s[6:7]
	s_barrier
	s_and_saveexec_b64 s[6:7], s[4:5]
	s_cbranch_execz .LBB71_20
; %bb.19:
	ds_write_b128 v26, v[2:5]
	ds_write_b128 v23, v[6:9]
	;; [unrolled: 1-line block ×4, first 2 shown]
.LBB71_20:
	s_or_b64 exec, exec, s[6:7]
	s_waitcnt lgkmcnt(0)
	s_barrier
	s_and_saveexec_b64 s[6:7], s[4:5]
	s_cbranch_execz .LBB71_22
; %bb.21:
	v_max_u32_e32 v2, 8, v0
	v_lshlrev_b32_e32 v27, 4, v2
	ds_read_b128 v[2:5], v27 offset:41856
	ds_read_b128 v[12:15], v27 offset:40832
	v_min_u32_e32 v30, 55, v0
	v_lshlrev_b32_e32 v48, 4, v30
	s_waitcnt lgkmcnt(1)
	v_mul_f64 v[10:11], v[4:5], v[4:5]
	v_fmac_f64_e32 v[10:11], v[2:3], v[2:3]
	v_div_scale_f64 v[6:7], s[8:9], v[10:11], v[10:11], 1.0
	v_rcp_f64_e32 v[8:9], v[6:7]
	v_div_scale_f64 v[16:17], vcc, 1.0, v[10:11], 1.0
	v_fma_f64 v[28:29], -v[6:7], v[8:9], 1.0
	v_fmac_f64_e32 v[8:9], v[8:9], v[28:29]
	v_fma_f64 v[28:29], -v[6:7], v[8:9], 1.0
	v_fmac_f64_e32 v[8:9], v[8:9], v[28:29]
	v_mul_f64 v[28:29], v[16:17], v[8:9]
	v_fma_f64 v[6:7], -v[6:7], v[28:29], v[16:17]
	v_div_fmas_f64 v[16:17], v[6:7], v[8:9], v[28:29]
	ds_read_b128 v[6:9], v25
	ds_read_b128 v[28:31], v24
	ds_read_b128 v[32:35], v48 offset:42112
	v_div_fixup_f64 v[10:11], v[16:17], v[10:11], 1.0
	ds_read_b128 v[36:39], v48 offset:41088
	s_waitcnt lgkmcnt(3)
	v_mul_f64 v[16:17], v[4:5], v[8:9]
	s_waitcnt lgkmcnt(1)
	v_mul_f64 v[40:41], v[34:35], v[34:35]
	v_fmac_f64_e32 v[40:41], v[32:33], v[32:33]
	v_div_scale_f64 v[42:43], s[8:9], v[40:41], v[40:41], 1.0
	v_rcp_f64_e32 v[44:45], v[42:43]
	v_mul_f64 v[4:5], v[4:5], -v[6:7]
	v_fmac_f64_e32 v[16:17], v[6:7], v[2:3]
	v_fmac_f64_e32 v[4:5], v[8:9], v[2:3]
	v_fma_f64 v[2:3], -v[42:43], v[44:45], 1.0
	v_fmac_f64_e32 v[44:45], v[44:45], v[2:3]
	v_fma_f64 v[2:3], -v[42:43], v[44:45], 1.0
	v_fmac_f64_e32 v[44:45], v[44:45], v[2:3]
	v_div_scale_f64 v[2:3], vcc, 1.0, v[40:41], 1.0
	v_mul_f64 v[46:47], v[10:11], v[4:5]
	v_mul_f64 v[4:5], v[2:3], v[44:45]
	v_fma_f64 v[2:3], -v[42:43], v[4:5], v[2:3]
	s_nop 0
	v_div_fmas_f64 v[2:3], v[2:3], v[44:45], v[4:5]
	v_div_fixup_f64 v[6:7], v[2:3], v[40:41], 1.0
	v_mul_f64 v[2:3], v[34:35], v[30:31]
	v_fmac_f64_e32 v[2:3], v[28:29], v[32:33]
	v_mul_f64 v[40:41], v[6:7], v[2:3]
	ds_read_b128 v[2:5], v27 offset:42880
	v_mul_f64 v[8:9], v[34:35], -v[28:29]
	v_fmac_f64_e32 v[8:9], v[30:31], v[32:33]
	ds_read_b128 v[28:31], v26
	ds_read_b128 v[32:35], v23
	v_mul_f64 v[16:17], v[10:11], v[16:17]
	v_mul_f64 v[42:43], v[6:7], v[8:9]
	ds_read_b128 v[6:9], v27 offset:44928
	s_waitcnt lgkmcnt(3)
	v_mul_f64 v[10:11], v[46:47], -v[4:5]
	v_fmac_f64_e32 v[10:11], v[2:3], v[16:17]
	v_mul_f64 v[2:3], v[46:47], v[2:3]
	v_fmac_f64_e32 v[2:3], v[4:5], v[16:17]
	s_waitcnt lgkmcnt(2)
	v_add_f64 v[4:5], v[28:29], -v[10:11]
	v_add_f64 v[10:11], v[30:31], -v[2:3]
	v_mul_f64 v[2:3], v[42:43], -v[38:39]
	v_mul_f64 v[28:29], v[42:43], v[36:37]
	v_fmac_f64_e32 v[2:3], v[36:37], v[40:41]
	v_fmac_f64_e32 v[28:29], v[38:39], v[40:41]
	v_add_f64 v[2:3], v[4:5], -v[2:3]
	v_add_f64 v[4:5], v[10:11], -v[28:29]
	ds_read_b128 v[28:31], v48 offset:45184
	s_waitcnt lgkmcnt(1)
	v_mul_f64 v[10:11], v[46:47], -v[8:9]
	v_fmac_f64_e32 v[10:11], v[6:7], v[16:17]
	v_mul_f64 v[6:7], v[46:47], v[6:7]
	v_fmac_f64_e32 v[6:7], v[8:9], v[16:17]
	v_add_f64 v[8:9], v[32:33], -v[10:11]
	v_add_f64 v[10:11], v[34:35], -v[6:7]
	ds_read_b128 v[32:35], v48 offset:43136
	s_waitcnt lgkmcnt(1)
	v_mul_f64 v[6:7], v[42:43], -v[30:31]
	v_fmac_f64_e32 v[6:7], v[28:29], v[40:41]
	v_mul_f64 v[28:29], v[42:43], v[28:29]
	v_fmac_f64_e32 v[28:29], v[30:31], v[40:41]
	v_add_f64 v[6:7], v[8:9], -v[6:7]
	v_add_f64 v[8:9], v[10:11], -v[28:29]
	v_mul_f64 v[10:11], v[46:47], v[14:15]
	v_fma_f64 v[10:11], -v[12:13], v[16:17], v[10:11]
	v_mul_f64 v[12:13], v[46:47], -v[12:13]
	v_fma_f64 v[12:13], -v[14:15], v[16:17], v[12:13]
	s_waitcnt lgkmcnt(0)
	v_mul_f64 v[14:15], v[42:43], v[34:35]
	v_mul_f64 v[16:17], v[42:43], -v[32:33]
	v_fma_f64 v[14:15], -v[32:33], v[40:41], v[14:15]
	v_fma_f64 v[16:17], -v[34:35], v[40:41], v[16:17]
.LBB71_22:
	s_or_b64 exec, exec, s[6:7]
	s_barrier
	s_and_saveexec_b64 s[6:7], s[4:5]
	s_cbranch_execz .LBB71_24
; %bb.23:
	ds_write_b128 v26, v[2:5]
	ds_write_b128 v23, v[6:9]
	;; [unrolled: 1-line block ×4, first 2 shown]
.LBB71_24:
	s_or_b64 exec, exec, s[6:7]
	s_waitcnt lgkmcnt(0)
	s_barrier
	s_and_saveexec_b64 s[6:7], s[4:5]
	s_cbranch_execz .LBB71_26
; %bb.25:
	v_max_u32_e32 v2, 16, v0
	v_lshlrev_b32_e32 v27, 4, v2
	ds_read_b128 v[2:5], v27 offset:41728
	ds_read_b128 v[12:15], v27 offset:40704
	v_min_u32_e32 v30, 47, v0
	v_lshlrev_b32_e32 v48, 4, v30
	s_waitcnt lgkmcnt(1)
	v_mul_f64 v[10:11], v[4:5], v[4:5]
	v_fmac_f64_e32 v[10:11], v[2:3], v[2:3]
	v_div_scale_f64 v[6:7], s[8:9], v[10:11], v[10:11], 1.0
	v_rcp_f64_e32 v[8:9], v[6:7]
	v_div_scale_f64 v[16:17], vcc, 1.0, v[10:11], 1.0
	v_fma_f64 v[28:29], -v[6:7], v[8:9], 1.0
	v_fmac_f64_e32 v[8:9], v[8:9], v[28:29]
	v_fma_f64 v[28:29], -v[6:7], v[8:9], 1.0
	v_fmac_f64_e32 v[8:9], v[8:9], v[28:29]
	v_mul_f64 v[28:29], v[16:17], v[8:9]
	v_fma_f64 v[6:7], -v[6:7], v[28:29], v[16:17]
	v_div_fmas_f64 v[16:17], v[6:7], v[8:9], v[28:29]
	ds_read_b128 v[6:9], v25
	ds_read_b128 v[28:31], v24
	ds_read_b128 v[32:35], v48 offset:42240
	v_div_fixup_f64 v[10:11], v[16:17], v[10:11], 1.0
	ds_read_b128 v[36:39], v48 offset:41216
	s_waitcnt lgkmcnt(3)
	v_mul_f64 v[16:17], v[4:5], v[8:9]
	s_waitcnt lgkmcnt(1)
	v_mul_f64 v[40:41], v[34:35], v[34:35]
	v_fmac_f64_e32 v[40:41], v[32:33], v[32:33]
	v_div_scale_f64 v[42:43], s[8:9], v[40:41], v[40:41], 1.0
	v_rcp_f64_e32 v[44:45], v[42:43]
	v_mul_f64 v[4:5], v[4:5], -v[6:7]
	v_fmac_f64_e32 v[16:17], v[6:7], v[2:3]
	v_fmac_f64_e32 v[4:5], v[8:9], v[2:3]
	v_fma_f64 v[2:3], -v[42:43], v[44:45], 1.0
	v_fmac_f64_e32 v[44:45], v[44:45], v[2:3]
	v_fma_f64 v[2:3], -v[42:43], v[44:45], 1.0
	v_fmac_f64_e32 v[44:45], v[44:45], v[2:3]
	v_div_scale_f64 v[2:3], vcc, 1.0, v[40:41], 1.0
	v_mul_f64 v[46:47], v[10:11], v[4:5]
	v_mul_f64 v[4:5], v[2:3], v[44:45]
	v_fma_f64 v[2:3], -v[42:43], v[4:5], v[2:3]
	s_nop 0
	v_div_fmas_f64 v[2:3], v[2:3], v[44:45], v[4:5]
	v_div_fixup_f64 v[6:7], v[2:3], v[40:41], 1.0
	v_mul_f64 v[2:3], v[34:35], v[30:31]
	v_fmac_f64_e32 v[2:3], v[28:29], v[32:33]
	v_mul_f64 v[40:41], v[6:7], v[2:3]
	ds_read_b128 v[2:5], v27 offset:42752
	v_mul_f64 v[8:9], v[34:35], -v[28:29]
	v_fmac_f64_e32 v[8:9], v[30:31], v[32:33]
	ds_read_b128 v[28:31], v26
	ds_read_b128 v[32:35], v23
	v_mul_f64 v[16:17], v[10:11], v[16:17]
	v_mul_f64 v[42:43], v[6:7], v[8:9]
	ds_read_b128 v[6:9], v27 offset:44800
	s_waitcnt lgkmcnt(3)
	v_mul_f64 v[10:11], v[46:47], -v[4:5]
	v_fmac_f64_e32 v[10:11], v[2:3], v[16:17]
	v_mul_f64 v[2:3], v[46:47], v[2:3]
	v_fmac_f64_e32 v[2:3], v[4:5], v[16:17]
	s_waitcnt lgkmcnt(2)
	v_add_f64 v[4:5], v[28:29], -v[10:11]
	v_add_f64 v[10:11], v[30:31], -v[2:3]
	v_mul_f64 v[2:3], v[42:43], -v[38:39]
	v_mul_f64 v[28:29], v[42:43], v[36:37]
	v_fmac_f64_e32 v[2:3], v[36:37], v[40:41]
	v_fmac_f64_e32 v[28:29], v[38:39], v[40:41]
	v_add_f64 v[2:3], v[4:5], -v[2:3]
	v_add_f64 v[4:5], v[10:11], -v[28:29]
	ds_read_b128 v[28:31], v48 offset:45312
	s_waitcnt lgkmcnt(1)
	v_mul_f64 v[10:11], v[46:47], -v[8:9]
	v_fmac_f64_e32 v[10:11], v[6:7], v[16:17]
	v_mul_f64 v[6:7], v[46:47], v[6:7]
	v_fmac_f64_e32 v[6:7], v[8:9], v[16:17]
	v_add_f64 v[8:9], v[32:33], -v[10:11]
	v_add_f64 v[10:11], v[34:35], -v[6:7]
	ds_read_b128 v[32:35], v48 offset:43264
	s_waitcnt lgkmcnt(1)
	v_mul_f64 v[6:7], v[42:43], -v[30:31]
	v_fmac_f64_e32 v[6:7], v[28:29], v[40:41]
	v_mul_f64 v[28:29], v[42:43], v[28:29]
	v_fmac_f64_e32 v[28:29], v[30:31], v[40:41]
	v_add_f64 v[6:7], v[8:9], -v[6:7]
	v_add_f64 v[8:9], v[10:11], -v[28:29]
	v_mul_f64 v[10:11], v[46:47], v[14:15]
	v_fma_f64 v[10:11], -v[12:13], v[16:17], v[10:11]
	v_mul_f64 v[12:13], v[46:47], -v[12:13]
	v_fma_f64 v[12:13], -v[14:15], v[16:17], v[12:13]
	s_waitcnt lgkmcnt(0)
	v_mul_f64 v[14:15], v[42:43], v[34:35]
	v_mul_f64 v[16:17], v[42:43], -v[32:33]
	v_fma_f64 v[14:15], -v[32:33], v[40:41], v[14:15]
	v_fma_f64 v[16:17], -v[34:35], v[40:41], v[16:17]
.LBB71_26:
	s_or_b64 exec, exec, s[6:7]
	s_barrier
	s_and_saveexec_b64 s[6:7], s[4:5]
	s_cbranch_execz .LBB71_28
; %bb.27:
	ds_write_b128 v26, v[2:5]
	ds_write_b128 v23, v[6:9]
	ds_write_b128 v25, v[10:13]
	ds_write_b128 v24, v[14:17]
.LBB71_28:
	s_or_b64 exec, exec, s[6:7]
	v_cmp_gt_u32_e32 vcc, 32, v0
	s_waitcnt lgkmcnt(0)
	s_barrier
	s_and_saveexec_b64 s[6:7], vcc
	s_cbranch_execz .LBB71_30
; %bb.29:
	ds_read_b128 v[2:5], v26
	ds_read_b128 v[6:9], v26 offset:512
	ds_read_b128 v[10:13], v25 offset:512
	ds_read_b128 v[14:17], v24
	s_waitcnt lgkmcnt(2)
	v_mul_f64 v[26:27], v[4:5], v[6:7]
	v_mul_f64 v[24:25], v[4:5], -v[8:9]
	s_waitcnt lgkmcnt(0)
	v_mul_f64 v[30:31], v[12:13], v[14:15]
	v_fmac_f64_e32 v[26:27], v[8:9], v[2:3]
	v_mul_f64 v[28:29], v[12:13], -v[16:17]
	v_fmac_f64_e32 v[30:31], v[16:17], v[10:11]
	v_fmac_f64_e32 v[24:25], v[6:7], v[2:3]
	;; [unrolled: 1-line block ×3, first 2 shown]
	v_add_f64 v[30:31], v[26:27], -v[30:31]
	v_add_f64 v[28:29], v[24:25], -v[28:29]
	v_mul_f64 v[24:25], v[30:31], v[30:31]
	v_fmac_f64_e32 v[24:25], v[28:29], v[28:29]
	v_div_scale_f64 v[26:27], s[8:9], v[24:25], v[24:25], 1.0
	v_rcp_f64_e32 v[32:33], v[26:27]
	v_fma_f64 v[34:35], -v[26:27], v[32:33], 1.0
	v_fmac_f64_e32 v[32:33], v[32:33], v[34:35]
	v_fma_f64 v[34:35], -v[26:27], v[32:33], 1.0
	v_fmac_f64_e32 v[32:33], v[32:33], v[34:35]
	v_div_scale_f64 v[34:35], vcc, 1.0, v[24:25], 1.0
	v_mul_f64 v[36:37], v[34:35], v[32:33]
	v_fma_f64 v[26:27], -v[26:27], v[36:37], v[34:35]
	v_fma_f64 v[34:35], 0, v[30:31], v[28:29]
	s_nop 0
	v_div_fmas_f64 v[26:27], v[26:27], v[32:33], v[36:37]
	v_div_fixup_f64 v[32:33], v[26:27], v[24:25], 1.0
	ds_read_b128 v[24:27], v23
	v_fma_f64 v[28:29], v[28:29], 0, -v[30:31]
	v_mul_f64 v[34:35], v[34:35], v[32:33]
	v_mul_f64 v[32:33], v[28:29], v[32:33]
	ds_read_b128 v[28:31], v23 offset:512
	s_waitcnt lgkmcnt(1)
	v_mul_f64 v[36:37], v[26:27], -v[8:9]
	v_fmac_f64_e32 v[36:37], v[6:7], v[24:25]
	v_mul_f64 v[6:7], v[6:7], v[26:27]
	v_fmac_f64_e32 v[6:7], v[8:9], v[24:25]
	s_waitcnt lgkmcnt(0)
	v_mul_f64 v[8:9], v[30:31], -v[16:17]
	v_fmac_f64_e32 v[8:9], v[14:15], v[28:29]
	v_mul_f64 v[14:15], v[14:15], v[30:31]
	v_fmac_f64_e32 v[14:15], v[16:17], v[28:29]
	v_add_f64 v[14:15], v[6:7], -v[14:15]
	v_add_f64 v[8:9], v[36:37], -v[8:9]
	v_mul_f64 v[6:7], v[32:33], -v[14:15]
	v_fmac_f64_e32 v[6:7], v[8:9], v[34:35]
	v_mul_f64 v[8:9], v[32:33], v[8:9]
	v_fmac_f64_e32 v[8:9], v[14:15], v[34:35]
	ds_write_b128 v22, v[6:9] offset:44032
	v_mul_f64 v[6:7], v[4:5], -v[30:31]
	v_mul_f64 v[4:5], v[4:5], v[28:29]
	v_fmac_f64_e32 v[6:7], v[28:29], v[2:3]
	v_fmac_f64_e32 v[4:5], v[30:31], v[2:3]
	v_mul_f64 v[2:3], v[12:13], -v[26:27]
	v_mul_f64 v[8:9], v[12:13], v[24:25]
	v_fmac_f64_e32 v[2:3], v[24:25], v[10:11]
	v_fmac_f64_e32 v[8:9], v[26:27], v[10:11]
	v_add_f64 v[6:7], v[6:7], -v[2:3]
	v_add_f64 v[8:9], v[4:5], -v[8:9]
	v_mul_f64 v[2:3], v[32:33], -v[8:9]
	v_mul_f64 v[4:5], v[32:33], v[6:7]
	v_fmac_f64_e32 v[2:3], v[6:7], v[34:35]
	v_fmac_f64_e32 v[4:5], v[8:9], v[34:35]
	ds_write_b128 v22, v[2:5] offset:44544
.LBB71_30:
	s_or_b64 exec, exec, s[6:7]
	s_waitcnt lgkmcnt(0)
	s_barrier
	s_and_saveexec_b64 s[6:7], s[4:5]
	s_cbranch_execz .LBB71_32
; %bb.31:
	ds_read_b128 v[2:5], v22 offset:44032
	s_waitcnt lgkmcnt(0)
	ds_write_b128 v1, v[2:5] offset:24560
.LBB71_32:
	s_or_b64 exec, exec, s[6:7]
	s_waitcnt lgkmcnt(0)
	s_barrier
	s_and_saveexec_b64 s[6:7], s[4:5]
	s_cbranch_execz .LBB71_38
; %bb.33:
	v_lshlrev_b32_e32 v1, 3, v0
	v_cmp_ne_u32_e32 vcc, 0, v0
	v_lshlrev_b32_e32 v1, 4, v1
                                        ; implicit-def: $vgpr4_vgpr5
	s_and_saveexec_b64 s[4:5], vcc
	s_xor_b64 s[4:5], exec, s[4:5]
	s_cbranch_execz .LBB71_35
; %bb.34:
	ds_read_b128 v[2:5], v1 offset:24560
	ds_read_b128 v[6:9], v1 offset:48
	;; [unrolled: 1-line block ×4, first 2 shown]
	s_waitcnt lgkmcnt(2)
	v_mul_f64 v[24:25], v[4:5], -v[8:9]
	v_mul_f64 v[26:27], v[4:5], v[6:7]
	v_fmac_f64_e32 v[24:25], v[6:7], v[2:3]
	ds_read_b128 v[4:7], v1 offset:16432
	v_fmac_f64_e32 v[26:27], v[8:9], v[2:3]
	s_waitcnt lgkmcnt(2)
	v_add_f64 v[2:3], v[10:11], -v[24:25]
	ds_read_b128 v[8:11], v1 offset:8240
	v_add_f64 v[12:13], v[12:13], -v[26:27]
	s_waitcnt lgkmcnt(1)
	v_mul_f64 v[24:25], v[16:17], -v[6:7]
	v_fmac_f64_e32 v[24:25], v[4:5], v[14:15]
	v_mul_f64 v[4:5], v[16:17], v[4:5]
	s_waitcnt lgkmcnt(0)
	v_mul_f64 v[16:17], v[10:11], v[10:11]
	v_fmac_f64_e32 v[16:17], v[8:9], v[8:9]
	v_div_scale_f64 v[26:27], s[8:9], v[16:17], v[16:17], 1.0
	v_rcp_f64_e32 v[28:29], v[26:27]
	v_fmac_f64_e32 v[4:5], v[6:7], v[14:15]
	v_add_f64 v[6:7], v[2:3], -v[24:25]
	v_add_f64 v[4:5], v[12:13], -v[4:5]
	v_fma_f64 v[2:3], -v[26:27], v[28:29], 1.0
	v_fmac_f64_e32 v[28:29], v[28:29], v[2:3]
	v_fma_f64 v[2:3], -v[26:27], v[28:29], 1.0
	v_fmac_f64_e32 v[28:29], v[28:29], v[2:3]
	v_div_scale_f64 v[2:3], vcc, 1.0, v[16:17], 1.0
	v_mul_f64 v[12:13], v[2:3], v[28:29]
	v_fma_f64 v[2:3], -v[26:27], v[12:13], v[2:3]
	s_nop 1
	v_div_fmas_f64 v[2:3], v[2:3], v[28:29], v[12:13]
	v_div_fixup_f64 v[12:13], v[2:3], v[16:17], 1.0
	v_mul_f64 v[2:3], v[4:5], v[10:11]
	v_fmac_f64_e32 v[2:3], v[6:7], v[8:9]
	v_mul_f64 v[6:7], v[10:11], -v[6:7]
	v_fmac_f64_e32 v[6:7], v[4:5], v[8:9]
	v_mul_f64 v[2:3], v[2:3], v[12:13]
	v_mul_f64 v[4:5], v[12:13], v[6:7]
.LBB71_35:
	s_andn2_saveexec_b64 s[4:5], s[4:5]
	s_cbranch_execz .LBB71_37
; %bb.36:
	ds_read_b128 v[2:5], v1 offset:24688
	ds_read_b128 v[6:9], v1 offset:16432
	;; [unrolled: 1-line block ×4, first 2 shown]
	s_waitcnt lgkmcnt(2)
	v_mul_f64 v[24:25], v[4:5], -v[8:9]
	v_mul_f64 v[4:5], v[4:5], v[6:7]
	v_fmac_f64_e32 v[24:25], v[6:7], v[2:3]
	s_waitcnt lgkmcnt(1)
	v_mul_f64 v[6:7], v[12:13], v[12:13]
	v_fmac_f64_e32 v[6:7], v[10:11], v[10:11]
	v_div_scale_f64 v[26:27], s[8:9], v[6:7], v[6:7], 1.0
	v_rcp_f64_e32 v[28:29], v[26:27]
	v_fmac_f64_e32 v[4:5], v[8:9], v[2:3]
	s_waitcnt lgkmcnt(0)
	v_add_f64 v[8:9], v[14:15], -v[24:25]
	v_add_f64 v[4:5], v[16:17], -v[4:5]
	v_fma_f64 v[2:3], -v[26:27], v[28:29], 1.0
	v_fmac_f64_e32 v[28:29], v[28:29], v[2:3]
	v_fma_f64 v[2:3], -v[26:27], v[28:29], 1.0
	v_fmac_f64_e32 v[28:29], v[28:29], v[2:3]
	v_div_scale_f64 v[2:3], vcc, 1.0, v[6:7], 1.0
	v_mul_f64 v[14:15], v[2:3], v[28:29]
	v_fma_f64 v[2:3], -v[26:27], v[14:15], v[2:3]
	s_nop 1
	v_div_fmas_f64 v[2:3], v[2:3], v[28:29], v[14:15]
	v_div_fixup_f64 v[6:7], v[2:3], v[6:7], 1.0
	v_mul_f64 v[2:3], v[4:5], v[12:13]
	v_fmac_f64_e32 v[2:3], v[8:9], v[10:11]
	v_mul_f64 v[8:9], v[12:13], -v[8:9]
	v_fmac_f64_e32 v[8:9], v[4:5], v[10:11]
	v_mul_f64 v[2:3], v[2:3], v[6:7]
	v_mul_f64 v[4:5], v[8:9], v[6:7]
.LBB71_37:
	s_or_b64 exec, exec, s[4:5]
	ds_write_b128 v1, v[2:5] offset:24624
.LBB71_38:
	s_or_b64 exec, exec, s[6:7]
	s_waitcnt lgkmcnt(0)
	s_barrier
	s_and_saveexec_b64 s[4:5], s[2:3]
	s_cbranch_execz .LBB71_44
; %bb.39:
	v_lshlrev_b32_e32 v1, 2, v0
	v_cmp_ne_u32_e32 vcc, 0, v0
	v_lshlrev_b32_e32 v1, 4, v1
                                        ; implicit-def: $vgpr4_vgpr5
	s_and_saveexec_b64 s[2:3], vcc
	s_xor_b64 s[2:3], exec, s[2:3]
	s_cbranch_execz .LBB71_41
; %bb.40:
	ds_read_b128 v[2:5], v1 offset:24560
	ds_read_b128 v[6:9], v1 offset:16
	;; [unrolled: 1-line block ×4, first 2 shown]
	s_waitcnt lgkmcnt(2)
	v_mul_f64 v[24:25], v[4:5], -v[8:9]
	v_mul_f64 v[26:27], v[4:5], v[6:7]
	v_fmac_f64_e32 v[24:25], v[6:7], v[2:3]
	ds_read_b128 v[4:7], v1 offset:16400
	v_fmac_f64_e32 v[26:27], v[8:9], v[2:3]
	s_waitcnt lgkmcnt(2)
	v_add_f64 v[2:3], v[10:11], -v[24:25]
	ds_read_b128 v[8:11], v1 offset:8208
	v_add_f64 v[12:13], v[12:13], -v[26:27]
	s_waitcnt lgkmcnt(1)
	v_mul_f64 v[24:25], v[16:17], -v[6:7]
	v_fmac_f64_e32 v[24:25], v[4:5], v[14:15]
	v_mul_f64 v[4:5], v[16:17], v[4:5]
	s_waitcnt lgkmcnt(0)
	v_mul_f64 v[16:17], v[10:11], v[10:11]
	v_fmac_f64_e32 v[16:17], v[8:9], v[8:9]
	v_div_scale_f64 v[26:27], s[6:7], v[16:17], v[16:17], 1.0
	v_rcp_f64_e32 v[28:29], v[26:27]
	v_fmac_f64_e32 v[4:5], v[6:7], v[14:15]
	v_add_f64 v[6:7], v[2:3], -v[24:25]
	v_add_f64 v[4:5], v[12:13], -v[4:5]
	v_fma_f64 v[2:3], -v[26:27], v[28:29], 1.0
	v_fmac_f64_e32 v[28:29], v[28:29], v[2:3]
	v_fma_f64 v[2:3], -v[26:27], v[28:29], 1.0
	v_fmac_f64_e32 v[28:29], v[28:29], v[2:3]
	v_div_scale_f64 v[2:3], vcc, 1.0, v[16:17], 1.0
	v_mul_f64 v[12:13], v[2:3], v[28:29]
	v_fma_f64 v[2:3], -v[26:27], v[12:13], v[2:3]
	s_nop 1
	v_div_fmas_f64 v[2:3], v[2:3], v[28:29], v[12:13]
	v_div_fixup_f64 v[12:13], v[2:3], v[16:17], 1.0
	v_mul_f64 v[2:3], v[4:5], v[10:11]
	v_fmac_f64_e32 v[2:3], v[6:7], v[8:9]
	v_mul_f64 v[6:7], v[10:11], -v[6:7]
	v_fmac_f64_e32 v[6:7], v[4:5], v[8:9]
	v_mul_f64 v[2:3], v[2:3], v[12:13]
	v_mul_f64 v[4:5], v[12:13], v[6:7]
.LBB71_41:
	s_andn2_saveexec_b64 s[2:3], s[2:3]
	s_cbranch_execz .LBB71_43
; %bb.42:
	ds_read_b128 v[2:5], v1 offset:24624
	ds_read_b128 v[6:9], v1 offset:16400
	;; [unrolled: 1-line block ×4, first 2 shown]
	s_waitcnt lgkmcnt(2)
	v_mul_f64 v[24:25], v[4:5], -v[8:9]
	v_mul_f64 v[4:5], v[4:5], v[6:7]
	v_fmac_f64_e32 v[24:25], v[6:7], v[2:3]
	s_waitcnt lgkmcnt(1)
	v_mul_f64 v[6:7], v[12:13], v[12:13]
	v_fmac_f64_e32 v[6:7], v[10:11], v[10:11]
	v_div_scale_f64 v[26:27], s[6:7], v[6:7], v[6:7], 1.0
	v_rcp_f64_e32 v[28:29], v[26:27]
	v_fmac_f64_e32 v[4:5], v[8:9], v[2:3]
	s_waitcnt lgkmcnt(0)
	v_add_f64 v[8:9], v[14:15], -v[24:25]
	v_add_f64 v[4:5], v[16:17], -v[4:5]
	v_fma_f64 v[2:3], -v[26:27], v[28:29], 1.0
	v_fmac_f64_e32 v[28:29], v[28:29], v[2:3]
	v_fma_f64 v[2:3], -v[26:27], v[28:29], 1.0
	v_fmac_f64_e32 v[28:29], v[28:29], v[2:3]
	v_div_scale_f64 v[2:3], vcc, 1.0, v[6:7], 1.0
	v_mul_f64 v[14:15], v[2:3], v[28:29]
	v_fma_f64 v[2:3], -v[26:27], v[14:15], v[2:3]
	s_nop 1
	v_div_fmas_f64 v[2:3], v[2:3], v[28:29], v[14:15]
	v_div_fixup_f64 v[6:7], v[2:3], v[6:7], 1.0
	v_mul_f64 v[2:3], v[4:5], v[12:13]
	v_fmac_f64_e32 v[2:3], v[8:9], v[10:11]
	v_mul_f64 v[8:9], v[12:13], -v[8:9]
	v_fmac_f64_e32 v[8:9], v[4:5], v[10:11]
	v_mul_f64 v[2:3], v[2:3], v[6:7]
	v_mul_f64 v[4:5], v[8:9], v[6:7]
.LBB71_43:
	s_or_b64 exec, exec, s[2:3]
	ds_write_b128 v1, v[2:5] offset:24592
.LBB71_44:
	s_or_b64 exec, exec, s[4:5]
	s_waitcnt lgkmcnt(0)
	s_barrier
	s_and_saveexec_b64 s[2:3], s[0:1]
	s_cbranch_execz .LBB71_50
; %bb.45:
	v_lshlrev_b32_e32 v1, 1, v0
	v_cmp_ne_u32_e32 vcc, 0, v0
	v_lshlrev_b32_e32 v4, 4, v1
                                        ; implicit-def: $vgpr2_vgpr3
	s_and_saveexec_b64 s[0:1], vcc
	s_xor_b64 s[0:1], exec, s[0:1]
	s_cbranch_execz .LBB71_47
; %bb.46:
	ds_read_b128 v[0:3], v4 offset:24560
	ds_read_b128 v[6:9], v4
	ds_read_b128 v[10:13], v4 offset:32768
	ds_read_b128 v[14:17], v4 offset:24592
	;; [unrolled: 1-line block ×3, first 2 shown]
	s_waitcnt lgkmcnt(3)
	v_mul_f64 v[28:29], v[2:3], -v[8:9]
	v_mul_f64 v[2:3], v[2:3], v[6:7]
	v_fmac_f64_e32 v[28:29], v[6:7], v[0:1]
	v_fmac_f64_e32 v[2:3], v[8:9], v[0:1]
	ds_read_b128 v[6:9], v4 offset:8192
	s_waitcnt lgkmcnt(3)
	v_add_f64 v[0:1], v[10:11], -v[28:29]
	v_add_f64 v[2:3], v[12:13], -v[2:3]
	s_waitcnt lgkmcnt(1)
	v_mul_f64 v[10:11], v[16:17], -v[26:27]
	v_mul_f64 v[12:13], v[16:17], v[24:25]
	s_waitcnt lgkmcnt(0)
	v_mul_f64 v[16:17], v[8:9], v[8:9]
	v_fmac_f64_e32 v[16:17], v[6:7], v[6:7]
	v_fmac_f64_e32 v[10:11], v[24:25], v[14:15]
	v_div_scale_f64 v[24:25], s[4:5], v[16:17], v[16:17], 1.0
	v_rcp_f64_e32 v[28:29], v[24:25]
	v_add_f64 v[10:11], v[0:1], -v[10:11]
	v_fmac_f64_e32 v[12:13], v[26:27], v[14:15]
	v_add_f64 v[2:3], v[2:3], -v[12:13]
	v_fma_f64 v[0:1], -v[24:25], v[28:29], 1.0
	v_fmac_f64_e32 v[28:29], v[28:29], v[0:1]
	v_fma_f64 v[0:1], -v[24:25], v[28:29], 1.0
	v_fmac_f64_e32 v[28:29], v[28:29], v[0:1]
	v_div_scale_f64 v[0:1], vcc, 1.0, v[16:17], 1.0
	v_mul_f64 v[12:13], v[0:1], v[28:29]
	v_fma_f64 v[0:1], -v[24:25], v[12:13], v[0:1]
	s_nop 1
	v_div_fmas_f64 v[0:1], v[0:1], v[28:29], v[12:13]
	v_div_fixup_f64 v[12:13], v[0:1], v[16:17], 1.0
	v_mul_f64 v[0:1], v[2:3], v[8:9]
	v_mul_f64 v[8:9], v[8:9], -v[10:11]
	v_fmac_f64_e32 v[0:1], v[10:11], v[6:7]
	v_fmac_f64_e32 v[8:9], v[2:3], v[6:7]
	v_mul_f64 v[0:1], v[0:1], v[12:13]
	v_mul_f64 v[2:3], v[12:13], v[8:9]
.LBB71_47:
	s_andn2_saveexec_b64 s[0:1], s[0:1]
	s_cbranch_execz .LBB71_49
; %bb.48:
	ds_read_b128 v[0:3], v4 offset:24592
	ds_read_b128 v[6:9], v4 offset:16384
	;; [unrolled: 1-line block ×4, first 2 shown]
	s_waitcnt lgkmcnt(2)
	v_mul_f64 v[24:25], v[2:3], -v[8:9]
	v_mul_f64 v[2:3], v[2:3], v[6:7]
	v_fmac_f64_e32 v[24:25], v[6:7], v[0:1]
	s_waitcnt lgkmcnt(1)
	v_mul_f64 v[6:7], v[12:13], v[12:13]
	v_fmac_f64_e32 v[6:7], v[10:11], v[10:11]
	v_div_scale_f64 v[26:27], s[4:5], v[6:7], v[6:7], 1.0
	v_rcp_f64_e32 v[28:29], v[26:27]
	v_fmac_f64_e32 v[2:3], v[8:9], v[0:1]
	s_waitcnt lgkmcnt(0)
	v_add_f64 v[8:9], v[14:15], -v[24:25]
	v_add_f64 v[2:3], v[16:17], -v[2:3]
	v_fma_f64 v[0:1], -v[26:27], v[28:29], 1.0
	v_fmac_f64_e32 v[28:29], v[28:29], v[0:1]
	v_fma_f64 v[0:1], -v[26:27], v[28:29], 1.0
	v_fmac_f64_e32 v[28:29], v[28:29], v[0:1]
	v_div_scale_f64 v[0:1], vcc, 1.0, v[6:7], 1.0
	v_mul_f64 v[14:15], v[0:1], v[28:29]
	v_fma_f64 v[0:1], -v[26:27], v[14:15], v[0:1]
	s_nop 1
	v_div_fmas_f64 v[0:1], v[0:1], v[28:29], v[14:15]
	v_div_fixup_f64 v[6:7], v[0:1], v[6:7], 1.0
	v_mul_f64 v[0:1], v[2:3], v[12:13]
	v_fmac_f64_e32 v[0:1], v[8:9], v[10:11]
	v_mul_f64 v[8:9], v[12:13], -v[8:9]
	v_fmac_f64_e32 v[8:9], v[2:3], v[10:11]
	v_mul_f64 v[0:1], v[0:1], v[6:7]
	v_mul_f64 v[2:3], v[8:9], v[6:7]
.LBB71_49:
	s_or_b64 exec, exec, s[0:1]
	ds_write_b128 v4, v[0:3] offset:24576
.LBB71_50:
	s_or_b64 exec, exec, s[2:3]
	v_or_b32_e32 v0, 0x6000, v22
	v_or_b32_e32 v4, 0x7000, v22
	s_waitcnt lgkmcnt(0)
	s_barrier
	ds_read2_b64 v[0:3], v0 offset1:1
	ds_read2_b64 v[4:7], v4 offset1:1
	s_waitcnt lgkmcnt(1)
	global_store_dwordx4 v[18:19], v[0:3], off
	s_waitcnt lgkmcnt(0)
	global_store_dwordx4 v[20:21], v[4:7], off
	s_endpgm
	.section	.rodata,"a",@progbits
	.p2align	6, 0x0
	.amdhsa_kernel _ZN9rocsparseL51gtsv_nopivot_strided_batch_crpcr_pow2_shared_kernelILj256ELj64E21rocsparse_complex_numIdEEEviiiPKT1_S5_S5_PS3_
		.amdhsa_group_segment_fixed_size 46080
		.amdhsa_private_segment_fixed_size 0
		.amdhsa_kernarg_size 48
		.amdhsa_user_sgpr_count 6
		.amdhsa_user_sgpr_private_segment_buffer 1
		.amdhsa_user_sgpr_dispatch_ptr 0
		.amdhsa_user_sgpr_queue_ptr 0
		.amdhsa_user_sgpr_kernarg_segment_ptr 1
		.amdhsa_user_sgpr_dispatch_id 0
		.amdhsa_user_sgpr_flat_scratch_init 0
		.amdhsa_user_sgpr_kernarg_preload_length 0
		.amdhsa_user_sgpr_kernarg_preload_offset 0
		.amdhsa_user_sgpr_private_segment_size 0
		.amdhsa_uses_dynamic_stack 0
		.amdhsa_system_sgpr_private_segment_wavefront_offset 0
		.amdhsa_system_sgpr_workgroup_id_x 1
		.amdhsa_system_sgpr_workgroup_id_y 0
		.amdhsa_system_sgpr_workgroup_id_z 0
		.amdhsa_system_sgpr_workgroup_info 0
		.amdhsa_system_vgpr_workitem_id 0
		.amdhsa_next_free_vgpr 49
		.amdhsa_next_free_sgpr 16
		.amdhsa_accum_offset 52
		.amdhsa_reserve_vcc 1
		.amdhsa_reserve_flat_scratch 0
		.amdhsa_float_round_mode_32 0
		.amdhsa_float_round_mode_16_64 0
		.amdhsa_float_denorm_mode_32 3
		.amdhsa_float_denorm_mode_16_64 3
		.amdhsa_dx10_clamp 1
		.amdhsa_ieee_mode 1
		.amdhsa_fp16_overflow 0
		.amdhsa_tg_split 0
		.amdhsa_exception_fp_ieee_invalid_op 0
		.amdhsa_exception_fp_denorm_src 0
		.amdhsa_exception_fp_ieee_div_zero 0
		.amdhsa_exception_fp_ieee_overflow 0
		.amdhsa_exception_fp_ieee_underflow 0
		.amdhsa_exception_fp_ieee_inexact 0
		.amdhsa_exception_int_div_zero 0
	.end_amdhsa_kernel
	.section	.text._ZN9rocsparseL51gtsv_nopivot_strided_batch_crpcr_pow2_shared_kernelILj256ELj64E21rocsparse_complex_numIdEEEviiiPKT1_S5_S5_PS3_,"axG",@progbits,_ZN9rocsparseL51gtsv_nopivot_strided_batch_crpcr_pow2_shared_kernelILj256ELj64E21rocsparse_complex_numIdEEEviiiPKT1_S5_S5_PS3_,comdat
.Lfunc_end71:
	.size	_ZN9rocsparseL51gtsv_nopivot_strided_batch_crpcr_pow2_shared_kernelILj256ELj64E21rocsparse_complex_numIdEEEviiiPKT1_S5_S5_PS3_, .Lfunc_end71-_ZN9rocsparseL51gtsv_nopivot_strided_batch_crpcr_pow2_shared_kernelILj256ELj64E21rocsparse_complex_numIdEEEviiiPKT1_S5_S5_PS3_
                                        ; -- End function
	.section	.AMDGPU.csdata,"",@progbits
; Kernel info:
; codeLenInByte = 8352
; NumSgprs: 20
; NumVgprs: 49
; NumAgprs: 0
; TotalNumVgprs: 49
; ScratchSize: 0
; MemoryBound: 0
; FloatMode: 240
; IeeeMode: 1
; LDSByteSize: 46080 bytes/workgroup (compile time only)
; SGPRBlocks: 2
; VGPRBlocks: 6
; NumSGPRsForWavesPerEU: 20
; NumVGPRsForWavesPerEU: 49
; AccumOffset: 52
; Occupancy: 1
; WaveLimiterHint : 0
; COMPUTE_PGM_RSRC2:SCRATCH_EN: 0
; COMPUTE_PGM_RSRC2:USER_SGPR: 6
; COMPUTE_PGM_RSRC2:TRAP_HANDLER: 0
; COMPUTE_PGM_RSRC2:TGID_X_EN: 1
; COMPUTE_PGM_RSRC2:TGID_Y_EN: 0
; COMPUTE_PGM_RSRC2:TGID_Z_EN: 0
; COMPUTE_PGM_RSRC2:TIDIG_COMP_CNT: 0
; COMPUTE_PGM_RSRC3_GFX90A:ACCUM_OFFSET: 12
; COMPUTE_PGM_RSRC3_GFX90A:TG_SPLIT: 0
	.section	.text._ZN9rocsparseL44gtsv_nopivot_strided_batch_pcr_shared_kernelILj4E21rocsparse_complex_numIdEEEviiiPKT0_S5_S5_PS3_,"axG",@progbits,_ZN9rocsparseL44gtsv_nopivot_strided_batch_pcr_shared_kernelILj4E21rocsparse_complex_numIdEEEviiiPKT0_S5_S5_PS3_,comdat
	.globl	_ZN9rocsparseL44gtsv_nopivot_strided_batch_pcr_shared_kernelILj4E21rocsparse_complex_numIdEEEviiiPKT0_S5_S5_PS3_ ; -- Begin function _ZN9rocsparseL44gtsv_nopivot_strided_batch_pcr_shared_kernelILj4E21rocsparse_complex_numIdEEEviiiPKT0_S5_S5_PS3_
	.p2align	8
	.type	_ZN9rocsparseL44gtsv_nopivot_strided_batch_pcr_shared_kernelILj4E21rocsparse_complex_numIdEEEviiiPKT0_S5_S5_PS3_,@function
_ZN9rocsparseL44gtsv_nopivot_strided_batch_pcr_shared_kernelILj4E21rocsparse_complex_numIdEEEviiiPKT0_S5_S5_PS3_: ; @_ZN9rocsparseL44gtsv_nopivot_strided_batch_pcr_shared_kernelILj4E21rocsparse_complex_numIdEEEviiiPKT0_S5_S5_PS3_
; %bb.0:
	s_load_dword s0, s[4:5], 0x8
	s_load_dword s8, s[4:5], 0x0
	v_pk_mov_b32 v[2:3], 0, 0
	v_pk_mov_b32 v[4:5], v[2:3], v[2:3] op_sel:[0,1]
	v_pk_mov_b32 v[6:7], v[2:3], v[2:3] op_sel:[0,1]
	s_waitcnt lgkmcnt(0)
	s_mul_i32 s6, s6, s0
	v_add_u32_e32 v8, s6, v0
	v_cmp_gt_i32_e64 s[0:1], s8, v0
	v_ashrrev_i32_e32 v9, 31, v8
	s_and_saveexec_b64 s[2:3], s[0:1]
	s_cbranch_execz .LBB72_2
; %bb.1:
	s_load_dwordx2 s[6:7], s[4:5], 0x10
	v_lshlrev_b64 v[4:5], 4, v[8:9]
	s_waitcnt lgkmcnt(0)
	v_mov_b32_e32 v1, s7
	v_add_co_u32_e32 v4, vcc, s6, v4
	v_addc_co_u32_e32 v5, vcc, v1, v5, vcc
	global_load_dwordx4 v[4:7], v[4:5], off
.LBB72_2:
	s_or_b64 exec, exec, s[2:3]
	v_lshlrev_b32_e32 v1, 4, v0
	s_waitcnt vmcnt(0)
	ds_write_b128 v1, v[4:7]
	v_pk_mov_b32 v[4:5], v[2:3], v[2:3] op_sel:[0,1]
	s_and_saveexec_b64 s[2:3], s[0:1]
	s_cbranch_execz .LBB72_4
; %bb.3:
	s_load_dwordx2 s[6:7], s[4:5], 0x18
	v_lshlrev_b64 v[2:3], 4, v[8:9]
	s_waitcnt lgkmcnt(0)
	v_mov_b32_e32 v4, s7
	v_add_co_u32_e32 v2, vcc, s6, v2
	v_addc_co_u32_e32 v3, vcc, v4, v3, vcc
	global_load_dwordx4 v[2:5], v[2:3], off
.LBB72_4:
	s_or_b64 exec, exec, s[2:3]
	s_load_dwordx2 s[2:3], s[4:5], 0x28
	s_waitcnt vmcnt(0)
	ds_write_b128 v1, v[2:5] offset:64
	v_pk_mov_b32 v[2:3], 0, 0
	v_pk_mov_b32 v[4:5], v[2:3], v[2:3] op_sel:[0,1]
	v_pk_mov_b32 v[6:7], v[2:3], v[2:3] op_sel:[0,1]
	s_and_saveexec_b64 s[6:7], s[0:1]
	s_cbranch_execz .LBB72_6
; %bb.5:
	s_load_dwordx2 s[4:5], s[4:5], 0x20
	v_lshlrev_b64 v[4:5], 4, v[8:9]
	s_waitcnt lgkmcnt(0)
	v_mov_b32_e32 v6, s5
	v_add_co_u32_e32 v4, vcc, s4, v4
	v_addc_co_u32_e32 v5, vcc, v6, v5, vcc
	global_load_dwordx4 v[4:7], v[4:5], off
.LBB72_6:
	s_or_b64 exec, exec, s[6:7]
	v_or_b32_e32 v11, 64, v1
	v_or_b32_e32 v10, 0x80, v1
	s_waitcnt vmcnt(0)
	ds_write_b128 v1, v[4:7] offset:128
	v_pk_mov_b32 v[4:5], v[2:3], v[2:3] op_sel:[0,1]
	s_and_saveexec_b64 s[4:5], s[0:1]
	s_cbranch_execz .LBB72_8
; %bb.7:
	v_lshlrev_b64 v[2:3], 4, v[8:9]
	s_waitcnt lgkmcnt(0)
	v_mov_b32_e32 v4, s3
	v_add_co_u32_e32 v2, vcc, s2, v2
	v_addc_co_u32_e32 v3, vcc, v4, v3, vcc
	global_load_dwordx4 v[2:5], v[2:3], off
.LBB72_8:
	s_or_b64 exec, exec, s[4:5]
	s_waitcnt vmcnt(0)
	ds_write_b128 v1, v[2:5] offset:256
	v_max_u32_e32 v2, 1, v0
	v_lshlrev_b32_e32 v40, 4, v2
	s_waitcnt lgkmcnt(0)
	; wave barrier
	s_waitcnt lgkmcnt(0)
	ds_read_b128 v[2:5], v40 offset:48
	s_add_i32 s4, s8, -1
	v_mov_b32_e32 v21, s4
	v_add_u32_e32 v20, 1, v0
	v_cmp_gt_i32_e32 vcc, s8, v20
	s_waitcnt lgkmcnt(0)
	v_mul_f64 v[6:7], v[4:5], v[4:5]
	v_fmac_f64_e32 v[6:7], v[2:3], v[2:3]
	v_div_scale_f64 v[16:17], s[4:5], v[6:7], v[6:7], 1.0
	v_rcp_f64_e32 v[18:19], v[16:17]
	v_cndmask_b32_e32 v24, v21, v20, vcc
	ds_read_b128 v[12:15], v40 offset:112
	v_lshlrev_b32_e32 v42, 4, v24
	v_fma_f64 v[20:21], -v[16:17], v[18:19], 1.0
	v_fmac_f64_e32 v[18:19], v[18:19], v[20:21]
	v_fma_f64 v[20:21], -v[16:17], v[18:19], 1.0
	v_fmac_f64_e32 v[18:19], v[18:19], v[20:21]
	v_div_scale_f64 v[20:21], vcc, 1.0, v[6:7], 1.0
	v_mul_f64 v[22:23], v[20:21], v[18:19]
	v_fma_f64 v[16:17], -v[16:17], v[22:23], v[20:21]
	v_add_u32_e32 v41, -16, v40
	s_nop 0
	v_div_fmas_f64 v[20:21], v[16:17], v[18:19], v[22:23]
	ds_read_b128 v[16:19], v1
	v_div_fixup_f64 v[6:7], v[20:21], v[6:7], 1.0
	ds_read_b128 v[20:23], v1 offset:256
	ds_read_b128 v[24:27], v42 offset:64
	s_waitcnt lgkmcnt(2)
	v_mul_f64 v[28:29], v[4:5], v[18:19]
	v_mul_f64 v[4:5], v[4:5], -v[16:17]
	s_waitcnt lgkmcnt(0)
	v_mul_f64 v[34:35], v[26:27], v[26:27]
	v_fmac_f64_e32 v[34:35], v[24:25], v[24:25]
	v_div_scale_f64 v[36:37], s[4:5], v[34:35], v[34:35], 1.0
	v_rcp_f64_e32 v[38:39], v[36:37]
	v_fmac_f64_e32 v[28:29], v[16:17], v[2:3]
	v_fmac_f64_e32 v[4:5], v[18:19], v[2:3]
	v_mul_f64 v[32:33], v[6:7], v[28:29]
	v_fma_f64 v[2:3], -v[36:37], v[38:39], 1.0
	v_fmac_f64_e32 v[38:39], v[38:39], v[2:3]
	v_fma_f64 v[2:3], -v[36:37], v[38:39], 1.0
	v_fmac_f64_e32 v[38:39], v[38:39], v[2:3]
	v_div_scale_f64 v[2:3], vcc, 1.0, v[34:35], 1.0
	v_mul_f64 v[16:17], v[2:3], v[38:39]
	v_mul_f64 v[6:7], v[6:7], v[4:5]
	v_fma_f64 v[18:19], -v[36:37], v[16:17], v[2:3]
	ds_read_b128 v[2:5], v10
	v_div_fmas_f64 v[16:17], v[18:19], v[38:39], v[16:17]
	v_div_fixup_f64 v[34:35], v[16:17], v[34:35], 1.0
	ds_read_b128 v[16:19], v11
	ds_read_b128 v[28:31], v42
	s_waitcnt lgkmcnt(2)
	v_mul_f64 v[36:37], v[26:27], v[4:5]
	v_fmac_f64_e32 v[36:37], v[2:3], v[24:25]
	v_mul_f64 v[2:3], v[26:27], -v[2:3]
	v_fmac_f64_e32 v[2:3], v[4:5], v[24:25]
	ds_read_b128 v[24:27], v42 offset:256
	v_mul_f64 v[36:37], v[34:35], v[36:37]
	v_mul_f64 v[34:35], v[34:35], v[2:3]
	v_mul_f64 v[2:3], v[6:7], -v[14:15]
	v_mul_f64 v[4:5], v[6:7], v[12:13]
	v_fmac_f64_e32 v[2:3], v[12:13], v[32:33]
	v_fmac_f64_e32 v[4:5], v[14:15], v[32:33]
	s_waitcnt lgkmcnt(2)
	v_add_f64 v[12:13], v[16:17], -v[2:3]
	v_add_f64 v[14:15], v[18:19], -v[4:5]
	ds_read_b128 v[2:5], v40 offset:240
	s_waitcnt lgkmcnt(2)
	v_mul_f64 v[16:17], v[34:35], -v[30:31]
	v_mul_f64 v[18:19], v[34:35], v[28:29]
	v_fmac_f64_e32 v[16:17], v[28:29], v[36:37]
	v_fmac_f64_e32 v[18:19], v[30:31], v[36:37]
	v_add_f64 v[12:13], v[12:13], -v[16:17]
	v_add_f64 v[14:15], v[14:15], -v[18:19]
	ds_read_b128 v[16:19], v41
	s_waitcnt lgkmcnt(1)
	v_mul_f64 v[28:29], v[6:7], -v[4:5]
	v_fmac_f64_e32 v[28:29], v[2:3], v[32:33]
	v_mul_f64 v[2:3], v[6:7], v[2:3]
	v_fmac_f64_e32 v[2:3], v[4:5], v[32:33]
	v_add_f64 v[22:23], v[22:23], -v[2:3]
	ds_read_b128 v[2:5], v42 offset:128
	v_add_f64 v[20:21], v[20:21], -v[28:29]
	v_mul_f64 v[28:29], v[34:35], -v[26:27]
	v_fmac_f64_e32 v[28:29], v[24:25], v[36:37]
	v_mul_f64 v[24:25], v[34:35], v[24:25]
	v_fmac_f64_e32 v[24:25], v[26:27], v[36:37]
	v_add_f64 v[22:23], v[22:23], -v[24:25]
	s_waitcnt lgkmcnt(1)
	v_mul_f64 v[24:25], v[6:7], v[18:19]
	v_mul_f64 v[6:7], v[6:7], -v[16:17]
	v_fma_f64 v[26:27], -v[18:19], v[32:33], v[6:7]
	s_waitcnt lgkmcnt(0)
	v_mul_f64 v[6:7], v[34:35], v[4:5]
	v_fma_f64 v[24:25], -v[16:17], v[32:33], v[24:25]
	v_fma_f64 v[16:17], -v[2:3], v[36:37], v[6:7]
	v_mul_f64 v[2:3], v[34:35], -v[2:3]
	v_cmp_gt_u32_e32 vcc, 2, v0
	v_add_f64 v[20:21], v[20:21], -v[28:29]
	v_fma_f64 v[18:19], -v[4:5], v[36:37], v[2:3]
	s_waitcnt lgkmcnt(0)
	; wave barrier
	ds_write_b128 v11, v[12:15]
	ds_write_b128 v1, v[20:23] offset:256
	ds_write_b128 v1, v[24:27]
	ds_write_b128 v10, v[16:19]
	s_waitcnt lgkmcnt(0)
	; wave barrier
	s_waitcnt lgkmcnt(0)
	s_and_saveexec_b64 s[4:5], vcc
	s_cbranch_execz .LBB72_14
; %bb.9:
	v_or_b32_e32 v6, 2, v0
	v_or_b32_e32 v7, 0x100, v1
	v_cmp_le_i32_e32 vcc, s8, v6
                                        ; implicit-def: $vgpr4_vgpr5
	s_and_saveexec_b64 s[6:7], vcc
	s_xor_b64 s[6:7], exec, s[6:7]
	s_cbranch_execz .LBB72_11
; %bb.10:
	ds_read_b128 v[10:13], v11
	ds_read_b128 v[4:7], v7
	s_waitcnt lgkmcnt(1)
	v_mul_f64 v[2:3], v[12:13], v[12:13]
	v_fmac_f64_e32 v[2:3], v[10:11], v[10:11]
	v_div_scale_f64 v[16:17], s[8:9], v[2:3], v[2:3], 1.0
	v_rcp_f64_e32 v[18:19], v[16:17]
	v_div_scale_f64 v[20:21], vcc, 1.0, v[2:3], 1.0
	s_waitcnt lgkmcnt(0)
	v_mul_f64 v[14:15], v[12:13], v[6:7]
	v_fma_f64 v[22:23], -v[16:17], v[18:19], 1.0
	v_fmac_f64_e32 v[18:19], v[18:19], v[22:23]
	v_fma_f64 v[22:23], -v[16:17], v[18:19], 1.0
	v_fmac_f64_e32 v[18:19], v[18:19], v[22:23]
	v_mul_f64 v[22:23], v[20:21], v[18:19]
	v_fma_f64 v[16:17], -v[16:17], v[22:23], v[20:21]
	v_fmac_f64_e32 v[14:15], v[4:5], v[10:11]
	v_div_fmas_f64 v[16:17], v[16:17], v[18:19], v[22:23]
	v_mul_f64 v[4:5], v[12:13], -v[4:5]
	v_div_fixup_f64 v[16:17], v[16:17], v[2:3], 1.0
	v_fmac_f64_e32 v[4:5], v[6:7], v[10:11]
	v_mul_f64 v[2:3], v[16:17], v[14:15]
	v_mul_f64 v[4:5], v[16:17], v[4:5]
                                        ; implicit-def: $vgpr11
                                        ; implicit-def: $vgpr10
                                        ; implicit-def: $vgpr7
                                        ; implicit-def: $vgpr6
.LBB72_11:
	s_andn2_saveexec_b64 s[6:7], s[6:7]
	s_cbranch_execz .LBB72_13
; %bb.12:
	ds_read_b128 v[2:5], v11 offset:32
	ds_read_b128 v[12:15], v11
	ds_read_b128 v[16:19], v1 offset:32
	ds_read_b128 v[20:23], v10
	v_mov_b32_e32 v0, v6
	s_waitcnt lgkmcnt(2)
	v_mul_f64 v[24:25], v[14:15], v[2:3]
	v_mul_f64 v[10:11], v[14:15], -v[4:5]
	s_waitcnt lgkmcnt(0)
	v_mul_f64 v[28:29], v[18:19], v[20:21]
	v_fmac_f64_e32 v[24:25], v[4:5], v[12:13]
	v_mul_f64 v[26:27], v[18:19], -v[22:23]
	v_fmac_f64_e32 v[28:29], v[22:23], v[16:17]
	v_fmac_f64_e32 v[10:11], v[2:3], v[12:13]
	;; [unrolled: 1-line block ×3, first 2 shown]
	v_add_f64 v[28:29], v[24:25], -v[28:29]
	v_add_f64 v[10:11], v[10:11], -v[26:27]
	v_mul_f64 v[24:25], v[28:29], v[28:29]
	v_fmac_f64_e32 v[24:25], v[10:11], v[10:11]
	v_div_scale_f64 v[26:27], s[8:9], v[24:25], v[24:25], 1.0
	v_rcp_f64_e32 v[30:31], v[26:27]
	v_fma_f64 v[32:33], -v[26:27], v[30:31], 1.0
	v_fmac_f64_e32 v[30:31], v[30:31], v[32:33]
	v_fma_f64 v[32:33], -v[26:27], v[30:31], 1.0
	v_fmac_f64_e32 v[30:31], v[30:31], v[32:33]
	v_div_scale_f64 v[32:33], vcc, 1.0, v[24:25], 1.0
	v_mul_f64 v[34:35], v[32:33], v[30:31]
	v_fma_f64 v[26:27], -v[26:27], v[34:35], v[32:33]
	v_fma_f64 v[32:33], 0, v[28:29], v[10:11]
	s_nop 0
	v_div_fmas_f64 v[26:27], v[26:27], v[30:31], v[34:35]
	v_div_fixup_f64 v[30:31], v[26:27], v[24:25], 1.0
	ds_read_b128 v[24:27], v7
	v_fma_f64 v[10:11], v[10:11], 0, -v[28:29]
	v_mul_f64 v[32:33], v[32:33], v[30:31]
	v_mul_f64 v[10:11], v[10:11], v[30:31]
	ds_read_b128 v[28:31], v7 offset:32
	s_waitcnt lgkmcnt(1)
	v_mul_f64 v[34:35], v[26:27], -v[4:5]
	v_fmac_f64_e32 v[34:35], v[2:3], v[24:25]
	v_mul_f64 v[2:3], v[2:3], v[26:27]
	v_fmac_f64_e32 v[2:3], v[4:5], v[24:25]
	s_waitcnt lgkmcnt(0)
	v_mul_f64 v[4:5], v[30:31], -v[22:23]
	v_fmac_f64_e32 v[4:5], v[20:21], v[28:29]
	v_mul_f64 v[20:21], v[20:21], v[30:31]
	v_fmac_f64_e32 v[20:21], v[22:23], v[28:29]
	v_add_f64 v[20:21], v[2:3], -v[20:21]
	v_add_f64 v[4:5], v[34:35], -v[4:5]
	v_mul_f64 v[2:3], v[10:11], -v[20:21]
	v_fmac_f64_e32 v[2:3], v[4:5], v[32:33]
	v_mul_f64 v[4:5], v[10:11], v[4:5]
	v_fmac_f64_e32 v[4:5], v[20:21], v[32:33]
	ds_write_b128 v1, v[2:5] offset:192
	v_mul_f64 v[2:3], v[14:15], -v[30:31]
	v_mul_f64 v[4:5], v[14:15], v[28:29]
	v_fmac_f64_e32 v[2:3], v[28:29], v[12:13]
	v_fmac_f64_e32 v[4:5], v[30:31], v[12:13]
	v_mul_f64 v[12:13], v[18:19], -v[26:27]
	v_mul_f64 v[14:15], v[18:19], v[24:25]
	v_fmac_f64_e32 v[12:13], v[24:25], v[16:17]
	v_fmac_f64_e32 v[14:15], v[26:27], v[16:17]
	v_add_f64 v[12:13], v[2:3], -v[12:13]
	v_add_f64 v[14:15], v[4:5], -v[14:15]
	v_mul_f64 v[2:3], v[10:11], -v[14:15]
	v_mul_f64 v[4:5], v[10:11], v[12:13]
	v_fmac_f64_e32 v[2:3], v[12:13], v[32:33]
	v_fmac_f64_e32 v[4:5], v[14:15], v[32:33]
.LBB72_13:
	s_or_b64 exec, exec, s[6:7]
	v_lshlrev_b32_e32 v0, 4, v0
	ds_write_b128 v0, v[2:5] offset:192
.LBB72_14:
	s_or_b64 exec, exec, s[4:5]
	s_waitcnt lgkmcnt(0)
	; wave barrier
	s_waitcnt lgkmcnt(0)
	s_and_saveexec_b64 s[4:5], s[0:1]
	s_cbranch_execz .LBB72_16
; %bb.15:
	ds_read2_b64 v[0:3], v1 offset0:24 offset1:25
	v_lshlrev_b64 v[4:5], 4, v[8:9]
	v_mov_b32_e32 v6, s3
	v_add_co_u32_e32 v4, vcc, s2, v4
	v_addc_co_u32_e32 v5, vcc, v6, v5, vcc
	s_waitcnt lgkmcnt(0)
	global_store_dwordx4 v[4:5], v[0:3], off
.LBB72_16:
	s_endpgm
	.section	.rodata,"a",@progbits
	.p2align	6, 0x0
	.amdhsa_kernel _ZN9rocsparseL44gtsv_nopivot_strided_batch_pcr_shared_kernelILj4E21rocsparse_complex_numIdEEEviiiPKT0_S5_S5_PS3_
		.amdhsa_group_segment_fixed_size 320
		.amdhsa_private_segment_fixed_size 0
		.amdhsa_kernarg_size 48
		.amdhsa_user_sgpr_count 6
		.amdhsa_user_sgpr_private_segment_buffer 1
		.amdhsa_user_sgpr_dispatch_ptr 0
		.amdhsa_user_sgpr_queue_ptr 0
		.amdhsa_user_sgpr_kernarg_segment_ptr 1
		.amdhsa_user_sgpr_dispatch_id 0
		.amdhsa_user_sgpr_flat_scratch_init 0
		.amdhsa_user_sgpr_kernarg_preload_length 0
		.amdhsa_user_sgpr_kernarg_preload_offset 0
		.amdhsa_user_sgpr_private_segment_size 0
		.amdhsa_uses_dynamic_stack 0
		.amdhsa_system_sgpr_private_segment_wavefront_offset 0
		.amdhsa_system_sgpr_workgroup_id_x 1
		.amdhsa_system_sgpr_workgroup_id_y 0
		.amdhsa_system_sgpr_workgroup_id_z 0
		.amdhsa_system_sgpr_workgroup_info 0
		.amdhsa_system_vgpr_workitem_id 0
		.amdhsa_next_free_vgpr 43
		.amdhsa_next_free_sgpr 10
		.amdhsa_accum_offset 44
		.amdhsa_reserve_vcc 1
		.amdhsa_reserve_flat_scratch 0
		.amdhsa_float_round_mode_32 0
		.amdhsa_float_round_mode_16_64 0
		.amdhsa_float_denorm_mode_32 3
		.amdhsa_float_denorm_mode_16_64 3
		.amdhsa_dx10_clamp 1
		.amdhsa_ieee_mode 1
		.amdhsa_fp16_overflow 0
		.amdhsa_tg_split 0
		.amdhsa_exception_fp_ieee_invalid_op 0
		.amdhsa_exception_fp_denorm_src 0
		.amdhsa_exception_fp_ieee_div_zero 0
		.amdhsa_exception_fp_ieee_overflow 0
		.amdhsa_exception_fp_ieee_underflow 0
		.amdhsa_exception_fp_ieee_inexact 0
		.amdhsa_exception_int_div_zero 0
	.end_amdhsa_kernel
	.section	.text._ZN9rocsparseL44gtsv_nopivot_strided_batch_pcr_shared_kernelILj4E21rocsparse_complex_numIdEEEviiiPKT0_S5_S5_PS3_,"axG",@progbits,_ZN9rocsparseL44gtsv_nopivot_strided_batch_pcr_shared_kernelILj4E21rocsparse_complex_numIdEEEviiiPKT0_S5_S5_PS3_,comdat
.Lfunc_end72:
	.size	_ZN9rocsparseL44gtsv_nopivot_strided_batch_pcr_shared_kernelILj4E21rocsparse_complex_numIdEEEviiiPKT0_S5_S5_PS3_, .Lfunc_end72-_ZN9rocsparseL44gtsv_nopivot_strided_batch_pcr_shared_kernelILj4E21rocsparse_complex_numIdEEEviiiPKT0_S5_S5_PS3_
                                        ; -- End function
	.section	.AMDGPU.csdata,"",@progbits
; Kernel info:
; codeLenInByte = 1800
; NumSgprs: 14
; NumVgprs: 43
; NumAgprs: 0
; TotalNumVgprs: 43
; ScratchSize: 0
; MemoryBound: 1
; FloatMode: 240
; IeeeMode: 1
; LDSByteSize: 320 bytes/workgroup (compile time only)
; SGPRBlocks: 1
; VGPRBlocks: 5
; NumSGPRsForWavesPerEU: 14
; NumVGPRsForWavesPerEU: 43
; AccumOffset: 44
; Occupancy: 8
; WaveLimiterHint : 0
; COMPUTE_PGM_RSRC2:SCRATCH_EN: 0
; COMPUTE_PGM_RSRC2:USER_SGPR: 6
; COMPUTE_PGM_RSRC2:TRAP_HANDLER: 0
; COMPUTE_PGM_RSRC2:TGID_X_EN: 1
; COMPUTE_PGM_RSRC2:TGID_Y_EN: 0
; COMPUTE_PGM_RSRC2:TGID_Z_EN: 0
; COMPUTE_PGM_RSRC2:TIDIG_COMP_CNT: 0
; COMPUTE_PGM_RSRC3_GFX90A:ACCUM_OFFSET: 10
; COMPUTE_PGM_RSRC3_GFX90A:TG_SPLIT: 0
	.section	.text._ZN9rocsparseL44gtsv_nopivot_strided_batch_pcr_shared_kernelILj8E21rocsparse_complex_numIdEEEviiiPKT0_S5_S5_PS3_,"axG",@progbits,_ZN9rocsparseL44gtsv_nopivot_strided_batch_pcr_shared_kernelILj8E21rocsparse_complex_numIdEEEviiiPKT0_S5_S5_PS3_,comdat
	.globl	_ZN9rocsparseL44gtsv_nopivot_strided_batch_pcr_shared_kernelILj8E21rocsparse_complex_numIdEEEviiiPKT0_S5_S5_PS3_ ; -- Begin function _ZN9rocsparseL44gtsv_nopivot_strided_batch_pcr_shared_kernelILj8E21rocsparse_complex_numIdEEEviiiPKT0_S5_S5_PS3_
	.p2align	8
	.type	_ZN9rocsparseL44gtsv_nopivot_strided_batch_pcr_shared_kernelILj8E21rocsparse_complex_numIdEEEviiiPKT0_S5_S5_PS3_,@function
_ZN9rocsparseL44gtsv_nopivot_strided_batch_pcr_shared_kernelILj8E21rocsparse_complex_numIdEEEviiiPKT0_S5_S5_PS3_: ; @_ZN9rocsparseL44gtsv_nopivot_strided_batch_pcr_shared_kernelILj8E21rocsparse_complex_numIdEEEviiiPKT0_S5_S5_PS3_
; %bb.0:
	s_load_dword s0, s[4:5], 0x8
	s_load_dword s8, s[4:5], 0x0
	v_pk_mov_b32 v[2:3], 0, 0
	v_pk_mov_b32 v[4:5], v[2:3], v[2:3] op_sel:[0,1]
	v_pk_mov_b32 v[6:7], v[2:3], v[2:3] op_sel:[0,1]
	s_waitcnt lgkmcnt(0)
	s_mul_i32 s6, s6, s0
	v_add_u32_e32 v8, s6, v0
	v_cmp_gt_i32_e64 s[0:1], s8, v0
	v_ashrrev_i32_e32 v9, 31, v8
	s_and_saveexec_b64 s[2:3], s[0:1]
	s_cbranch_execz .LBB73_2
; %bb.1:
	s_load_dwordx2 s[6:7], s[4:5], 0x10
	v_lshlrev_b64 v[4:5], 4, v[8:9]
	s_waitcnt lgkmcnt(0)
	v_mov_b32_e32 v1, s7
	v_add_co_u32_e32 v4, vcc, s6, v4
	v_addc_co_u32_e32 v5, vcc, v1, v5, vcc
	global_load_dwordx4 v[4:7], v[4:5], off
.LBB73_2:
	s_or_b64 exec, exec, s[2:3]
	v_lshlrev_b32_e32 v1, 4, v0
	s_waitcnt vmcnt(0)
	ds_write_b128 v1, v[4:7]
	v_pk_mov_b32 v[4:5], v[2:3], v[2:3] op_sel:[0,1]
	s_and_saveexec_b64 s[2:3], s[0:1]
	s_cbranch_execz .LBB73_4
; %bb.3:
	s_load_dwordx2 s[6:7], s[4:5], 0x18
	v_lshlrev_b64 v[2:3], 4, v[8:9]
	s_waitcnt lgkmcnt(0)
	v_mov_b32_e32 v4, s7
	v_add_co_u32_e32 v2, vcc, s6, v2
	v_addc_co_u32_e32 v3, vcc, v4, v3, vcc
	global_load_dwordx4 v[2:5], v[2:3], off
.LBB73_4:
	s_or_b64 exec, exec, s[2:3]
	s_load_dwordx2 s[2:3], s[4:5], 0x28
	s_waitcnt vmcnt(0)
	ds_write_b128 v1, v[2:5] offset:128
	v_pk_mov_b32 v[2:3], 0, 0
	v_pk_mov_b32 v[4:5], v[2:3], v[2:3] op_sel:[0,1]
	v_pk_mov_b32 v[6:7], v[2:3], v[2:3] op_sel:[0,1]
	s_and_saveexec_b64 s[6:7], s[0:1]
	s_cbranch_execz .LBB73_6
; %bb.5:
	s_load_dwordx2 s[4:5], s[4:5], 0x20
	v_lshlrev_b64 v[4:5], 4, v[8:9]
	s_waitcnt lgkmcnt(0)
	v_mov_b32_e32 v6, s5
	v_add_co_u32_e32 v4, vcc, s4, v4
	v_addc_co_u32_e32 v5, vcc, v6, v5, vcc
	global_load_dwordx4 v[4:7], v[4:5], off
.LBB73_6:
	s_or_b64 exec, exec, s[6:7]
	v_or_b32_e32 v11, 0x80, v1
	v_or_b32_e32 v10, 0x100, v1
	s_waitcnt vmcnt(0)
	ds_write_b128 v1, v[4:7] offset:256
	v_pk_mov_b32 v[4:5], v[2:3], v[2:3] op_sel:[0,1]
	s_and_saveexec_b64 s[4:5], s[0:1]
	s_cbranch_execz .LBB73_8
; %bb.7:
	v_lshlrev_b64 v[2:3], 4, v[8:9]
	s_waitcnt lgkmcnt(0)
	v_mov_b32_e32 v4, s3
	v_add_co_u32_e32 v2, vcc, s2, v2
	v_addc_co_u32_e32 v3, vcc, v4, v3, vcc
	global_load_dwordx4 v[2:5], v[2:3], off
.LBB73_8:
	s_or_b64 exec, exec, s[4:5]
	s_waitcnt vmcnt(0)
	ds_write_b128 v1, v[2:5] offset:512
	v_max_u32_e32 v2, 1, v0
	v_lshlrev_b32_e32 v40, 4, v2
	s_waitcnt lgkmcnt(0)
	; wave barrier
	s_waitcnt lgkmcnt(0)
	ds_read_b128 v[2:5], v40 offset:112
	s_add_i32 s4, s8, -1
	v_mov_b32_e32 v41, s4
	v_add_u32_e32 v20, 1, v0
	v_cmp_gt_i32_e32 vcc, s8, v20
	s_waitcnt lgkmcnt(0)
	v_mul_f64 v[6:7], v[4:5], v[4:5]
	v_fmac_f64_e32 v[6:7], v[2:3], v[2:3]
	v_div_scale_f64 v[16:17], s[4:5], v[6:7], v[6:7], 1.0
	v_rcp_f64_e32 v[18:19], v[16:17]
	v_cndmask_b32_e32 v24, v41, v20, vcc
	ds_read_b128 v[12:15], v40 offset:240
	v_lshlrev_b32_e32 v43, 4, v24
	v_fma_f64 v[20:21], -v[16:17], v[18:19], 1.0
	v_fmac_f64_e32 v[18:19], v[18:19], v[20:21]
	v_fma_f64 v[20:21], -v[16:17], v[18:19], 1.0
	v_fmac_f64_e32 v[18:19], v[18:19], v[20:21]
	v_div_scale_f64 v[20:21], vcc, 1.0, v[6:7], 1.0
	v_mul_f64 v[22:23], v[20:21], v[18:19]
	v_fma_f64 v[16:17], -v[16:17], v[22:23], v[20:21]
	v_add_u32_e32 v42, -16, v40
	s_nop 0
	v_div_fmas_f64 v[20:21], v[16:17], v[18:19], v[22:23]
	ds_read_b128 v[16:19], v1
	v_div_fixup_f64 v[6:7], v[20:21], v[6:7], 1.0
	ds_read_b128 v[20:23], v1 offset:512
	ds_read_b128 v[24:27], v43 offset:128
	s_waitcnt lgkmcnt(2)
	v_mul_f64 v[28:29], v[4:5], v[18:19]
	v_mul_f64 v[4:5], v[4:5], -v[16:17]
	s_waitcnt lgkmcnt(0)
	v_mul_f64 v[34:35], v[26:27], v[26:27]
	v_fmac_f64_e32 v[34:35], v[24:25], v[24:25]
	v_div_scale_f64 v[36:37], s[4:5], v[34:35], v[34:35], 1.0
	v_rcp_f64_e32 v[38:39], v[36:37]
	v_fmac_f64_e32 v[28:29], v[16:17], v[2:3]
	v_fmac_f64_e32 v[4:5], v[18:19], v[2:3]
	v_mul_f64 v[32:33], v[6:7], v[28:29]
	v_fma_f64 v[2:3], -v[36:37], v[38:39], 1.0
	v_fmac_f64_e32 v[38:39], v[38:39], v[2:3]
	v_fma_f64 v[2:3], -v[36:37], v[38:39], 1.0
	v_fmac_f64_e32 v[38:39], v[38:39], v[2:3]
	v_div_scale_f64 v[2:3], vcc, 1.0, v[34:35], 1.0
	v_mul_f64 v[16:17], v[2:3], v[38:39]
	v_mul_f64 v[6:7], v[6:7], v[4:5]
	v_fma_f64 v[18:19], -v[36:37], v[16:17], v[2:3]
	ds_read_b128 v[2:5], v10
	v_div_fmas_f64 v[16:17], v[18:19], v[38:39], v[16:17]
	v_div_fixup_f64 v[34:35], v[16:17], v[34:35], 1.0
	ds_read_b128 v[16:19], v11
	ds_read_b128 v[28:31], v43
	s_waitcnt lgkmcnt(2)
	v_mul_f64 v[36:37], v[26:27], v[4:5]
	v_fmac_f64_e32 v[36:37], v[2:3], v[24:25]
	v_mul_f64 v[2:3], v[26:27], -v[2:3]
	v_fmac_f64_e32 v[2:3], v[4:5], v[24:25]
	ds_read_b128 v[24:27], v43 offset:512
	v_mul_f64 v[36:37], v[34:35], v[36:37]
	v_mul_f64 v[34:35], v[34:35], v[2:3]
	v_mul_f64 v[2:3], v[6:7], -v[14:15]
	v_mul_f64 v[4:5], v[6:7], v[12:13]
	v_fmac_f64_e32 v[2:3], v[12:13], v[32:33]
	v_fmac_f64_e32 v[4:5], v[14:15], v[32:33]
	s_waitcnt lgkmcnt(2)
	v_add_f64 v[12:13], v[16:17], -v[2:3]
	v_add_f64 v[14:15], v[18:19], -v[4:5]
	ds_read_b128 v[2:5], v40 offset:496
	s_waitcnt lgkmcnt(2)
	v_mul_f64 v[16:17], v[34:35], -v[30:31]
	v_mul_f64 v[18:19], v[34:35], v[28:29]
	v_fmac_f64_e32 v[16:17], v[28:29], v[36:37]
	v_fmac_f64_e32 v[18:19], v[30:31], v[36:37]
	v_add_f64 v[12:13], v[12:13], -v[16:17]
	v_add_f64 v[14:15], v[14:15], -v[18:19]
	ds_read_b128 v[16:19], v42
	s_waitcnt lgkmcnt(1)
	v_mul_f64 v[28:29], v[6:7], -v[4:5]
	v_fmac_f64_e32 v[28:29], v[2:3], v[32:33]
	v_mul_f64 v[2:3], v[6:7], v[2:3]
	v_fmac_f64_e32 v[2:3], v[4:5], v[32:33]
	v_add_f64 v[22:23], v[22:23], -v[2:3]
	ds_read_b128 v[2:5], v43 offset:256
	v_add_f64 v[20:21], v[20:21], -v[28:29]
	v_mul_f64 v[28:29], v[34:35], -v[26:27]
	v_fmac_f64_e32 v[28:29], v[24:25], v[36:37]
	v_mul_f64 v[24:25], v[34:35], v[24:25]
	v_fmac_f64_e32 v[24:25], v[26:27], v[36:37]
	v_add_f64 v[22:23], v[22:23], -v[24:25]
	s_waitcnt lgkmcnt(1)
	v_mul_f64 v[24:25], v[6:7], v[18:19]
	v_mul_f64 v[6:7], v[6:7], -v[16:17]
	v_fma_f64 v[26:27], -v[18:19], v[32:33], v[6:7]
	s_waitcnt lgkmcnt(0)
	v_mul_f64 v[6:7], v[34:35], v[4:5]
	v_fma_f64 v[24:25], -v[16:17], v[32:33], v[24:25]
	v_fma_f64 v[16:17], -v[2:3], v[36:37], v[6:7]
	v_mul_f64 v[2:3], v[34:35], -v[2:3]
	v_fma_f64 v[18:19], -v[4:5], v[36:37], v[2:3]
	v_max_u32_e32 v2, 2, v0
	v_lshlrev_b32_e32 v40, 4, v2
	v_add_f64 v[20:21], v[20:21], -v[28:29]
	s_waitcnt lgkmcnt(0)
	; wave barrier
	ds_write_b128 v11, v[12:15]
	ds_write_b128 v1, v[20:23] offset:512
	ds_write_b128 v1, v[24:27]
	ds_write_b128 v10, v[16:19]
	s_waitcnt lgkmcnt(0)
	; wave barrier
	s_waitcnt lgkmcnt(0)
	ds_read_b128 v[2:5], v40 offset:96
	v_add_u32_e32 v20, 2, v0
	v_cmp_gt_i32_e32 vcc, s8, v20
	v_cndmask_b32_e32 v24, v41, v20, vcc
	ds_read_b128 v[12:15], v40 offset:224
	s_waitcnt lgkmcnt(1)
	v_mul_f64 v[6:7], v[4:5], v[4:5]
	v_fmac_f64_e32 v[6:7], v[2:3], v[2:3]
	v_div_scale_f64 v[16:17], s[4:5], v[6:7], v[6:7], 1.0
	v_rcp_f64_e32 v[18:19], v[16:17]
	v_lshlrev_b32_e32 v42, 4, v24
	v_subrev_u32_e32 v41, 32, v40
	v_fma_f64 v[20:21], -v[16:17], v[18:19], 1.0
	v_fmac_f64_e32 v[18:19], v[18:19], v[20:21]
	v_fma_f64 v[20:21], -v[16:17], v[18:19], 1.0
	v_fmac_f64_e32 v[18:19], v[18:19], v[20:21]
	v_div_scale_f64 v[20:21], vcc, 1.0, v[6:7], 1.0
	v_mul_f64 v[22:23], v[20:21], v[18:19]
	v_fma_f64 v[16:17], -v[16:17], v[22:23], v[20:21]
	s_nop 1
	v_div_fmas_f64 v[20:21], v[16:17], v[18:19], v[22:23]
	ds_read_b128 v[16:19], v1
	v_div_fixup_f64 v[6:7], v[20:21], v[6:7], 1.0
	ds_read_b128 v[20:23], v1 offset:512
	ds_read_b128 v[24:27], v42 offset:128
	s_waitcnt lgkmcnt(2)
	v_mul_f64 v[28:29], v[4:5], v[18:19]
	v_mul_f64 v[4:5], v[4:5], -v[16:17]
	s_waitcnt lgkmcnt(0)
	v_mul_f64 v[34:35], v[26:27], v[26:27]
	v_fmac_f64_e32 v[34:35], v[24:25], v[24:25]
	v_div_scale_f64 v[36:37], s[4:5], v[34:35], v[34:35], 1.0
	v_rcp_f64_e32 v[38:39], v[36:37]
	v_fmac_f64_e32 v[28:29], v[16:17], v[2:3]
	v_fmac_f64_e32 v[4:5], v[18:19], v[2:3]
	v_mul_f64 v[32:33], v[6:7], v[28:29]
	v_fma_f64 v[2:3], -v[36:37], v[38:39], 1.0
	v_fmac_f64_e32 v[38:39], v[38:39], v[2:3]
	v_fma_f64 v[2:3], -v[36:37], v[38:39], 1.0
	v_fmac_f64_e32 v[38:39], v[38:39], v[2:3]
	v_div_scale_f64 v[2:3], vcc, 1.0, v[34:35], 1.0
	v_mul_f64 v[16:17], v[2:3], v[38:39]
	v_mul_f64 v[6:7], v[6:7], v[4:5]
	v_fma_f64 v[18:19], -v[36:37], v[16:17], v[2:3]
	ds_read_b128 v[2:5], v10
	v_div_fmas_f64 v[16:17], v[18:19], v[38:39], v[16:17]
	v_div_fixup_f64 v[34:35], v[16:17], v[34:35], 1.0
	ds_read_b128 v[16:19], v11
	ds_read_b128 v[28:31], v42
	s_waitcnt lgkmcnt(2)
	v_mul_f64 v[36:37], v[26:27], v[4:5]
	v_fmac_f64_e32 v[36:37], v[2:3], v[24:25]
	v_mul_f64 v[2:3], v[26:27], -v[2:3]
	v_fmac_f64_e32 v[2:3], v[4:5], v[24:25]
	ds_read_b128 v[24:27], v42 offset:512
	v_mul_f64 v[36:37], v[34:35], v[36:37]
	v_mul_f64 v[34:35], v[34:35], v[2:3]
	v_mul_f64 v[2:3], v[6:7], -v[14:15]
	v_mul_f64 v[4:5], v[6:7], v[12:13]
	v_fmac_f64_e32 v[2:3], v[12:13], v[32:33]
	v_fmac_f64_e32 v[4:5], v[14:15], v[32:33]
	s_waitcnt lgkmcnt(2)
	v_add_f64 v[12:13], v[16:17], -v[2:3]
	v_add_f64 v[14:15], v[18:19], -v[4:5]
	ds_read_b128 v[2:5], v40 offset:480
	s_waitcnt lgkmcnt(2)
	v_mul_f64 v[16:17], v[34:35], -v[30:31]
	v_mul_f64 v[18:19], v[34:35], v[28:29]
	v_fmac_f64_e32 v[16:17], v[28:29], v[36:37]
	v_fmac_f64_e32 v[18:19], v[30:31], v[36:37]
	v_add_f64 v[12:13], v[12:13], -v[16:17]
	v_add_f64 v[14:15], v[14:15], -v[18:19]
	ds_read_b128 v[16:19], v41
	s_waitcnt lgkmcnt(1)
	v_mul_f64 v[28:29], v[6:7], -v[4:5]
	v_fmac_f64_e32 v[28:29], v[2:3], v[32:33]
	v_mul_f64 v[2:3], v[6:7], v[2:3]
	v_fmac_f64_e32 v[2:3], v[4:5], v[32:33]
	v_add_f64 v[22:23], v[22:23], -v[2:3]
	ds_read_b128 v[2:5], v42 offset:256
	v_add_f64 v[20:21], v[20:21], -v[28:29]
	v_mul_f64 v[28:29], v[34:35], -v[26:27]
	v_fmac_f64_e32 v[28:29], v[24:25], v[36:37]
	v_mul_f64 v[24:25], v[34:35], v[24:25]
	v_fmac_f64_e32 v[24:25], v[26:27], v[36:37]
	v_add_f64 v[22:23], v[22:23], -v[24:25]
	s_waitcnt lgkmcnt(1)
	v_mul_f64 v[24:25], v[6:7], v[18:19]
	v_mul_f64 v[6:7], v[6:7], -v[16:17]
	v_fma_f64 v[26:27], -v[18:19], v[32:33], v[6:7]
	s_waitcnt lgkmcnt(0)
	v_mul_f64 v[6:7], v[34:35], v[4:5]
	v_fma_f64 v[24:25], -v[16:17], v[32:33], v[24:25]
	v_fma_f64 v[16:17], -v[2:3], v[36:37], v[6:7]
	v_mul_f64 v[2:3], v[34:35], -v[2:3]
	v_cmp_gt_u32_e32 vcc, 4, v0
	v_add_f64 v[20:21], v[20:21], -v[28:29]
	v_fma_f64 v[18:19], -v[4:5], v[36:37], v[2:3]
	s_waitcnt lgkmcnt(0)
	; wave barrier
	ds_write_b128 v11, v[12:15]
	ds_write_b128 v1, v[20:23] offset:512
	ds_write_b128 v1, v[24:27]
	ds_write_b128 v10, v[16:19]
	s_waitcnt lgkmcnt(0)
	; wave barrier
	s_waitcnt lgkmcnt(0)
	s_and_saveexec_b64 s[4:5], vcc
	s_cbranch_execz .LBB73_14
; %bb.9:
	v_or_b32_e32 v6, 4, v0
	v_or_b32_e32 v7, 0x200, v1
	v_cmp_le_i32_e32 vcc, s8, v6
                                        ; implicit-def: $vgpr4_vgpr5
	s_and_saveexec_b64 s[6:7], vcc
	s_xor_b64 s[6:7], exec, s[6:7]
	s_cbranch_execz .LBB73_11
; %bb.10:
	ds_read_b128 v[10:13], v11
	ds_read_b128 v[4:7], v7
	s_waitcnt lgkmcnt(1)
	v_mul_f64 v[2:3], v[12:13], v[12:13]
	v_fmac_f64_e32 v[2:3], v[10:11], v[10:11]
	v_div_scale_f64 v[16:17], s[8:9], v[2:3], v[2:3], 1.0
	v_rcp_f64_e32 v[18:19], v[16:17]
	v_div_scale_f64 v[20:21], vcc, 1.0, v[2:3], 1.0
	s_waitcnt lgkmcnt(0)
	v_mul_f64 v[14:15], v[12:13], v[6:7]
	v_fma_f64 v[22:23], -v[16:17], v[18:19], 1.0
	v_fmac_f64_e32 v[18:19], v[18:19], v[22:23]
	v_fma_f64 v[22:23], -v[16:17], v[18:19], 1.0
	v_fmac_f64_e32 v[18:19], v[18:19], v[22:23]
	v_mul_f64 v[22:23], v[20:21], v[18:19]
	v_fma_f64 v[16:17], -v[16:17], v[22:23], v[20:21]
	v_fmac_f64_e32 v[14:15], v[4:5], v[10:11]
	v_div_fmas_f64 v[16:17], v[16:17], v[18:19], v[22:23]
	v_mul_f64 v[4:5], v[12:13], -v[4:5]
	v_div_fixup_f64 v[16:17], v[16:17], v[2:3], 1.0
	v_fmac_f64_e32 v[4:5], v[6:7], v[10:11]
	v_mul_f64 v[2:3], v[16:17], v[14:15]
	v_mul_f64 v[4:5], v[16:17], v[4:5]
                                        ; implicit-def: $vgpr11
                                        ; implicit-def: $vgpr10
                                        ; implicit-def: $vgpr7
                                        ; implicit-def: $vgpr6
.LBB73_11:
	s_andn2_saveexec_b64 s[6:7], s[6:7]
	s_cbranch_execz .LBB73_13
; %bb.12:
	ds_read_b128 v[2:5], v11 offset:64
	ds_read_b128 v[12:15], v11
	ds_read_b128 v[16:19], v1 offset:64
	ds_read_b128 v[20:23], v10
	v_mov_b32_e32 v0, v6
	s_waitcnt lgkmcnt(2)
	v_mul_f64 v[24:25], v[14:15], v[2:3]
	v_mul_f64 v[10:11], v[14:15], -v[4:5]
	s_waitcnt lgkmcnt(0)
	v_mul_f64 v[28:29], v[18:19], v[20:21]
	v_fmac_f64_e32 v[24:25], v[4:5], v[12:13]
	v_mul_f64 v[26:27], v[18:19], -v[22:23]
	v_fmac_f64_e32 v[28:29], v[22:23], v[16:17]
	v_fmac_f64_e32 v[10:11], v[2:3], v[12:13]
	;; [unrolled: 1-line block ×3, first 2 shown]
	v_add_f64 v[28:29], v[24:25], -v[28:29]
	v_add_f64 v[10:11], v[10:11], -v[26:27]
	v_mul_f64 v[24:25], v[28:29], v[28:29]
	v_fmac_f64_e32 v[24:25], v[10:11], v[10:11]
	v_div_scale_f64 v[26:27], s[8:9], v[24:25], v[24:25], 1.0
	v_rcp_f64_e32 v[30:31], v[26:27]
	v_fma_f64 v[32:33], -v[26:27], v[30:31], 1.0
	v_fmac_f64_e32 v[30:31], v[30:31], v[32:33]
	v_fma_f64 v[32:33], -v[26:27], v[30:31], 1.0
	v_fmac_f64_e32 v[30:31], v[30:31], v[32:33]
	v_div_scale_f64 v[32:33], vcc, 1.0, v[24:25], 1.0
	v_mul_f64 v[34:35], v[32:33], v[30:31]
	v_fma_f64 v[26:27], -v[26:27], v[34:35], v[32:33]
	v_fma_f64 v[32:33], 0, v[28:29], v[10:11]
	s_nop 0
	v_div_fmas_f64 v[26:27], v[26:27], v[30:31], v[34:35]
	v_div_fixup_f64 v[30:31], v[26:27], v[24:25], 1.0
	ds_read_b128 v[24:27], v7
	v_fma_f64 v[10:11], v[10:11], 0, -v[28:29]
	v_mul_f64 v[32:33], v[32:33], v[30:31]
	v_mul_f64 v[10:11], v[10:11], v[30:31]
	ds_read_b128 v[28:31], v7 offset:64
	s_waitcnt lgkmcnt(1)
	v_mul_f64 v[34:35], v[26:27], -v[4:5]
	v_fmac_f64_e32 v[34:35], v[2:3], v[24:25]
	v_mul_f64 v[2:3], v[2:3], v[26:27]
	v_fmac_f64_e32 v[2:3], v[4:5], v[24:25]
	s_waitcnt lgkmcnt(0)
	v_mul_f64 v[4:5], v[30:31], -v[22:23]
	v_fmac_f64_e32 v[4:5], v[20:21], v[28:29]
	v_mul_f64 v[20:21], v[20:21], v[30:31]
	v_fmac_f64_e32 v[20:21], v[22:23], v[28:29]
	v_add_f64 v[20:21], v[2:3], -v[20:21]
	v_add_f64 v[4:5], v[34:35], -v[4:5]
	v_mul_f64 v[2:3], v[10:11], -v[20:21]
	v_fmac_f64_e32 v[2:3], v[4:5], v[32:33]
	v_mul_f64 v[4:5], v[10:11], v[4:5]
	v_fmac_f64_e32 v[4:5], v[20:21], v[32:33]
	ds_write_b128 v1, v[2:5] offset:384
	v_mul_f64 v[2:3], v[14:15], -v[30:31]
	v_mul_f64 v[4:5], v[14:15], v[28:29]
	v_fmac_f64_e32 v[2:3], v[28:29], v[12:13]
	v_fmac_f64_e32 v[4:5], v[30:31], v[12:13]
	v_mul_f64 v[12:13], v[18:19], -v[26:27]
	v_mul_f64 v[14:15], v[18:19], v[24:25]
	v_fmac_f64_e32 v[12:13], v[24:25], v[16:17]
	v_fmac_f64_e32 v[14:15], v[26:27], v[16:17]
	v_add_f64 v[12:13], v[2:3], -v[12:13]
	v_add_f64 v[14:15], v[4:5], -v[14:15]
	v_mul_f64 v[2:3], v[10:11], -v[14:15]
	v_mul_f64 v[4:5], v[10:11], v[12:13]
	v_fmac_f64_e32 v[2:3], v[12:13], v[32:33]
	v_fmac_f64_e32 v[4:5], v[14:15], v[32:33]
.LBB73_13:
	s_or_b64 exec, exec, s[6:7]
	v_lshlrev_b32_e32 v0, 4, v0
	ds_write_b128 v0, v[2:5] offset:384
.LBB73_14:
	s_or_b64 exec, exec, s[4:5]
	s_waitcnt lgkmcnt(0)
	; wave barrier
	s_waitcnt lgkmcnt(0)
	s_and_saveexec_b64 s[4:5], s[0:1]
	s_cbranch_execz .LBB73_16
; %bb.15:
	ds_read2_b64 v[0:3], v1 offset0:48 offset1:49
	v_lshlrev_b64 v[4:5], 4, v[8:9]
	v_mov_b32_e32 v6, s3
	v_add_co_u32_e32 v4, vcc, s2, v4
	v_addc_co_u32_e32 v5, vcc, v6, v5, vcc
	s_waitcnt lgkmcnt(0)
	global_store_dwordx4 v[4:5], v[0:3], off
.LBB73_16:
	s_endpgm
	.section	.rodata,"a",@progbits
	.p2align	6, 0x0
	.amdhsa_kernel _ZN9rocsparseL44gtsv_nopivot_strided_batch_pcr_shared_kernelILj8E21rocsparse_complex_numIdEEEviiiPKT0_S5_S5_PS3_
		.amdhsa_group_segment_fixed_size 640
		.amdhsa_private_segment_fixed_size 0
		.amdhsa_kernarg_size 48
		.amdhsa_user_sgpr_count 6
		.amdhsa_user_sgpr_private_segment_buffer 1
		.amdhsa_user_sgpr_dispatch_ptr 0
		.amdhsa_user_sgpr_queue_ptr 0
		.amdhsa_user_sgpr_kernarg_segment_ptr 1
		.amdhsa_user_sgpr_dispatch_id 0
		.amdhsa_user_sgpr_flat_scratch_init 0
		.amdhsa_user_sgpr_kernarg_preload_length 0
		.amdhsa_user_sgpr_kernarg_preload_offset 0
		.amdhsa_user_sgpr_private_segment_size 0
		.amdhsa_uses_dynamic_stack 0
		.amdhsa_system_sgpr_private_segment_wavefront_offset 0
		.amdhsa_system_sgpr_workgroup_id_x 1
		.amdhsa_system_sgpr_workgroup_id_y 0
		.amdhsa_system_sgpr_workgroup_id_z 0
		.amdhsa_system_sgpr_workgroup_info 0
		.amdhsa_system_vgpr_workitem_id 0
		.amdhsa_next_free_vgpr 44
		.amdhsa_next_free_sgpr 10
		.amdhsa_accum_offset 44
		.amdhsa_reserve_vcc 1
		.amdhsa_reserve_flat_scratch 0
		.amdhsa_float_round_mode_32 0
		.amdhsa_float_round_mode_16_64 0
		.amdhsa_float_denorm_mode_32 3
		.amdhsa_float_denorm_mode_16_64 3
		.amdhsa_dx10_clamp 1
		.amdhsa_ieee_mode 1
		.amdhsa_fp16_overflow 0
		.amdhsa_tg_split 0
		.amdhsa_exception_fp_ieee_invalid_op 0
		.amdhsa_exception_fp_denorm_src 0
		.amdhsa_exception_fp_ieee_div_zero 0
		.amdhsa_exception_fp_ieee_overflow 0
		.amdhsa_exception_fp_ieee_underflow 0
		.amdhsa_exception_fp_ieee_inexact 0
		.amdhsa_exception_int_div_zero 0
	.end_amdhsa_kernel
	.section	.text._ZN9rocsparseL44gtsv_nopivot_strided_batch_pcr_shared_kernelILj8E21rocsparse_complex_numIdEEEviiiPKT0_S5_S5_PS3_,"axG",@progbits,_ZN9rocsparseL44gtsv_nopivot_strided_batch_pcr_shared_kernelILj8E21rocsparse_complex_numIdEEEviiiPKT0_S5_S5_PS3_,comdat
.Lfunc_end73:
	.size	_ZN9rocsparseL44gtsv_nopivot_strided_batch_pcr_shared_kernelILj8E21rocsparse_complex_numIdEEEviiiPKT0_S5_S5_PS3_, .Lfunc_end73-_ZN9rocsparseL44gtsv_nopivot_strided_batch_pcr_shared_kernelILj8E21rocsparse_complex_numIdEEEviiiPKT0_S5_S5_PS3_
                                        ; -- End function
	.section	.AMDGPU.csdata,"",@progbits
; Kernel info:
; codeLenInByte = 2492
; NumSgprs: 14
; NumVgprs: 44
; NumAgprs: 0
; TotalNumVgprs: 44
; ScratchSize: 0
; MemoryBound: 1
; FloatMode: 240
; IeeeMode: 1
; LDSByteSize: 640 bytes/workgroup (compile time only)
; SGPRBlocks: 1
; VGPRBlocks: 5
; NumSGPRsForWavesPerEU: 14
; NumVGPRsForWavesPerEU: 44
; AccumOffset: 44
; Occupancy: 8
; WaveLimiterHint : 0
; COMPUTE_PGM_RSRC2:SCRATCH_EN: 0
; COMPUTE_PGM_RSRC2:USER_SGPR: 6
; COMPUTE_PGM_RSRC2:TRAP_HANDLER: 0
; COMPUTE_PGM_RSRC2:TGID_X_EN: 1
; COMPUTE_PGM_RSRC2:TGID_Y_EN: 0
; COMPUTE_PGM_RSRC2:TGID_Z_EN: 0
; COMPUTE_PGM_RSRC2:TIDIG_COMP_CNT: 0
; COMPUTE_PGM_RSRC3_GFX90A:ACCUM_OFFSET: 10
; COMPUTE_PGM_RSRC3_GFX90A:TG_SPLIT: 0
	.section	.text._ZN9rocsparseL44gtsv_nopivot_strided_batch_pcr_shared_kernelILj16E21rocsparse_complex_numIdEEEviiiPKT0_S5_S5_PS3_,"axG",@progbits,_ZN9rocsparseL44gtsv_nopivot_strided_batch_pcr_shared_kernelILj16E21rocsparse_complex_numIdEEEviiiPKT0_S5_S5_PS3_,comdat
	.globl	_ZN9rocsparseL44gtsv_nopivot_strided_batch_pcr_shared_kernelILj16E21rocsparse_complex_numIdEEEviiiPKT0_S5_S5_PS3_ ; -- Begin function _ZN9rocsparseL44gtsv_nopivot_strided_batch_pcr_shared_kernelILj16E21rocsparse_complex_numIdEEEviiiPKT0_S5_S5_PS3_
	.p2align	8
	.type	_ZN9rocsparseL44gtsv_nopivot_strided_batch_pcr_shared_kernelILj16E21rocsparse_complex_numIdEEEviiiPKT0_S5_S5_PS3_,@function
_ZN9rocsparseL44gtsv_nopivot_strided_batch_pcr_shared_kernelILj16E21rocsparse_complex_numIdEEEviiiPKT0_S5_S5_PS3_: ; @_ZN9rocsparseL44gtsv_nopivot_strided_batch_pcr_shared_kernelILj16E21rocsparse_complex_numIdEEEviiiPKT0_S5_S5_PS3_
; %bb.0:
	s_load_dword s0, s[4:5], 0x8
	s_load_dword s8, s[4:5], 0x0
	v_pk_mov_b32 v[2:3], 0, 0
	v_pk_mov_b32 v[4:5], v[2:3], v[2:3] op_sel:[0,1]
	v_pk_mov_b32 v[6:7], v[2:3], v[2:3] op_sel:[0,1]
	s_waitcnt lgkmcnt(0)
	s_mul_i32 s6, s6, s0
	v_add_u32_e32 v8, s6, v0
	v_cmp_gt_i32_e64 s[0:1], s8, v0
	v_ashrrev_i32_e32 v9, 31, v8
	s_and_saveexec_b64 s[2:3], s[0:1]
	s_cbranch_execz .LBB74_2
; %bb.1:
	s_load_dwordx2 s[6:7], s[4:5], 0x10
	v_lshlrev_b64 v[4:5], 4, v[8:9]
	s_waitcnt lgkmcnt(0)
	v_mov_b32_e32 v1, s7
	v_add_co_u32_e32 v4, vcc, s6, v4
	v_addc_co_u32_e32 v5, vcc, v1, v5, vcc
	global_load_dwordx4 v[4:7], v[4:5], off
.LBB74_2:
	s_or_b64 exec, exec, s[2:3]
	v_lshlrev_b32_e32 v1, 4, v0
	s_waitcnt vmcnt(0)
	ds_write_b128 v1, v[4:7]
	v_pk_mov_b32 v[4:5], v[2:3], v[2:3] op_sel:[0,1]
	s_and_saveexec_b64 s[2:3], s[0:1]
	s_cbranch_execz .LBB74_4
; %bb.3:
	s_load_dwordx2 s[6:7], s[4:5], 0x18
	v_lshlrev_b64 v[2:3], 4, v[8:9]
	s_waitcnt lgkmcnt(0)
	v_mov_b32_e32 v4, s7
	v_add_co_u32_e32 v2, vcc, s6, v2
	v_addc_co_u32_e32 v3, vcc, v4, v3, vcc
	global_load_dwordx4 v[2:5], v[2:3], off
.LBB74_4:
	s_or_b64 exec, exec, s[2:3]
	s_load_dwordx2 s[2:3], s[4:5], 0x28
	s_waitcnt vmcnt(0)
	ds_write_b128 v1, v[2:5] offset:256
	v_pk_mov_b32 v[2:3], 0, 0
	v_pk_mov_b32 v[4:5], v[2:3], v[2:3] op_sel:[0,1]
	v_pk_mov_b32 v[6:7], v[2:3], v[2:3] op_sel:[0,1]
	s_and_saveexec_b64 s[6:7], s[0:1]
	s_cbranch_execz .LBB74_6
; %bb.5:
	s_load_dwordx2 s[4:5], s[4:5], 0x20
	v_lshlrev_b64 v[4:5], 4, v[8:9]
	s_waitcnt lgkmcnt(0)
	v_mov_b32_e32 v6, s5
	v_add_co_u32_e32 v4, vcc, s4, v4
	v_addc_co_u32_e32 v5, vcc, v6, v5, vcc
	global_load_dwordx4 v[4:7], v[4:5], off
.LBB74_6:
	s_or_b64 exec, exec, s[6:7]
	v_or_b32_e32 v11, 0x100, v1
	v_or_b32_e32 v10, 0x200, v1
	s_waitcnt vmcnt(0)
	ds_write_b128 v1, v[4:7] offset:512
	v_pk_mov_b32 v[4:5], v[2:3], v[2:3] op_sel:[0,1]
	s_and_saveexec_b64 s[4:5], s[0:1]
	s_cbranch_execz .LBB74_8
; %bb.7:
	v_lshlrev_b64 v[2:3], 4, v[8:9]
	s_waitcnt lgkmcnt(0)
	v_mov_b32_e32 v4, s3
	v_add_co_u32_e32 v2, vcc, s2, v2
	v_addc_co_u32_e32 v3, vcc, v4, v3, vcc
	global_load_dwordx4 v[2:5], v[2:3], off
.LBB74_8:
	s_or_b64 exec, exec, s[4:5]
	s_waitcnt vmcnt(0)
	ds_write_b128 v1, v[2:5] offset:1024
	v_max_u32_e32 v2, 1, v0
	v_lshlrev_b32_e32 v3, 4, v2
	s_waitcnt lgkmcnt(0)
	; wave barrier
	s_waitcnt lgkmcnt(0)
	ds_read_b128 v[4:7], v3 offset:240
	s_add_i32 s4, s8, -1
	v_mov_b32_e32 v2, s4
	v_add_u32_e32 v22, 1, v0
	v_cmp_gt_i32_e32 vcc, s8, v22
	s_waitcnt lgkmcnt(0)
	v_mul_f64 v[20:21], v[6:7], v[6:7]
	v_fmac_f64_e32 v[20:21], v[4:5], v[4:5]
	v_div_scale_f64 v[16:17], s[4:5], v[20:21], v[20:21], 1.0
	v_rcp_f64_e32 v[18:19], v[16:17]
	v_cndmask_b32_e32 v26, v2, v22, vcc
	ds_read_b128 v[12:15], v3 offset:496
	v_lshlrev_b32_e32 v43, 4, v26
	v_fma_f64 v[22:23], -v[16:17], v[18:19], 1.0
	v_fmac_f64_e32 v[18:19], v[18:19], v[22:23]
	v_fma_f64 v[22:23], -v[16:17], v[18:19], 1.0
	v_fmac_f64_e32 v[18:19], v[18:19], v[22:23]
	v_div_scale_f64 v[22:23], vcc, 1.0, v[20:21], 1.0
	v_mul_f64 v[24:25], v[22:23], v[18:19]
	v_fma_f64 v[16:17], -v[16:17], v[24:25], v[22:23]
	v_add_u32_e32 v42, -16, v3
	s_nop 0
	v_div_fmas_f64 v[22:23], v[16:17], v[18:19], v[24:25]
	ds_read_b128 v[16:19], v1
	v_div_fixup_f64 v[32:33], v[22:23], v[20:21], 1.0
	ds_read_b128 v[20:23], v1 offset:1024
	ds_read_b128 v[24:27], v43 offset:256
	s_waitcnt lgkmcnt(2)
	v_mul_f64 v[28:29], v[6:7], v[18:19]
	v_mul_f64 v[6:7], v[6:7], -v[16:17]
	s_waitcnt lgkmcnt(0)
	v_mul_f64 v[36:37], v[26:27], v[26:27]
	v_fmac_f64_e32 v[36:37], v[24:25], v[24:25]
	v_div_scale_f64 v[38:39], s[4:5], v[36:37], v[36:37], 1.0
	v_rcp_f64_e32 v[40:41], v[38:39]
	v_fmac_f64_e32 v[28:29], v[16:17], v[4:5]
	v_fmac_f64_e32 v[6:7], v[18:19], v[4:5]
	v_mul_f64 v[34:35], v[32:33], v[28:29]
	v_fma_f64 v[4:5], -v[38:39], v[40:41], 1.0
	v_fmac_f64_e32 v[40:41], v[40:41], v[4:5]
	v_fma_f64 v[4:5], -v[38:39], v[40:41], 1.0
	v_fmac_f64_e32 v[40:41], v[40:41], v[4:5]
	v_div_scale_f64 v[4:5], vcc, 1.0, v[36:37], 1.0
	v_mul_f64 v[16:17], v[4:5], v[40:41]
	v_mul_f64 v[32:33], v[32:33], v[6:7]
	v_fma_f64 v[18:19], -v[38:39], v[16:17], v[4:5]
	ds_read_b128 v[4:7], v10
	v_div_fmas_f64 v[16:17], v[18:19], v[40:41], v[16:17]
	v_div_fixup_f64 v[36:37], v[16:17], v[36:37], 1.0
	ds_read_b128 v[16:19], v11
	ds_read_b128 v[28:31], v43
	s_waitcnt lgkmcnt(2)
	v_mul_f64 v[38:39], v[26:27], v[6:7]
	v_fmac_f64_e32 v[38:39], v[4:5], v[24:25]
	v_mul_f64 v[4:5], v[26:27], -v[4:5]
	v_fmac_f64_e32 v[4:5], v[6:7], v[24:25]
	ds_read_b128 v[24:27], v43 offset:1024
	v_mul_f64 v[38:39], v[36:37], v[38:39]
	v_mul_f64 v[36:37], v[36:37], v[4:5]
	v_mul_f64 v[4:5], v[32:33], -v[14:15]
	v_mul_f64 v[6:7], v[32:33], v[12:13]
	v_fmac_f64_e32 v[4:5], v[12:13], v[34:35]
	v_fmac_f64_e32 v[6:7], v[14:15], v[34:35]
	s_waitcnt lgkmcnt(2)
	v_add_f64 v[12:13], v[16:17], -v[4:5]
	v_add_f64 v[14:15], v[18:19], -v[6:7]
	ds_read_b128 v[4:7], v3 offset:1008
	s_waitcnt lgkmcnt(2)
	v_mul_f64 v[16:17], v[36:37], -v[30:31]
	v_mul_f64 v[18:19], v[36:37], v[28:29]
	v_fmac_f64_e32 v[16:17], v[28:29], v[38:39]
	v_fmac_f64_e32 v[18:19], v[30:31], v[38:39]
	v_add_f64 v[12:13], v[12:13], -v[16:17]
	v_add_f64 v[14:15], v[14:15], -v[18:19]
	ds_read_b128 v[16:19], v42
	s_waitcnt lgkmcnt(1)
	v_mul_f64 v[28:29], v[32:33], -v[6:7]
	v_fmac_f64_e32 v[28:29], v[4:5], v[34:35]
	v_mul_f64 v[4:5], v[32:33], v[4:5]
	v_fmac_f64_e32 v[4:5], v[6:7], v[34:35]
	v_add_f64 v[20:21], v[20:21], -v[28:29]
	v_add_f64 v[22:23], v[22:23], -v[4:5]
	ds_read_b128 v[4:7], v43 offset:512
	v_mul_f64 v[28:29], v[36:37], -v[26:27]
	v_fmac_f64_e32 v[28:29], v[24:25], v[38:39]
	v_mul_f64 v[24:25], v[36:37], v[24:25]
	v_fmac_f64_e32 v[24:25], v[26:27], v[38:39]
	v_add_f64 v[22:23], v[22:23], -v[24:25]
	s_waitcnt lgkmcnt(1)
	v_mul_f64 v[24:25], v[32:33], v[18:19]
	v_fma_f64 v[24:25], -v[16:17], v[34:35], v[24:25]
	v_mul_f64 v[16:17], v[32:33], -v[16:17]
	v_fma_f64 v[26:27], -v[18:19], v[34:35], v[16:17]
	s_waitcnt lgkmcnt(0)
	v_mul_f64 v[16:17], v[36:37], v[6:7]
	v_max_u32_e32 v3, 2, v0
	v_fma_f64 v[16:17], -v[4:5], v[38:39], v[16:17]
	v_mul_f64 v[4:5], v[36:37], -v[4:5]
	v_lshlrev_b32_e32 v3, 4, v3
	v_add_f64 v[20:21], v[20:21], -v[28:29]
	v_fma_f64 v[18:19], -v[6:7], v[38:39], v[4:5]
	s_waitcnt lgkmcnt(0)
	; wave barrier
	ds_write_b128 v11, v[12:15]
	ds_write_b128 v1, v[20:23] offset:1024
	ds_write_b128 v1, v[24:27]
	ds_write_b128 v10, v[16:19]
	s_waitcnt lgkmcnt(0)
	; wave barrier
	s_waitcnt lgkmcnt(0)
	ds_read_b128 v[4:7], v3 offset:224
	v_add_u32_e32 v22, 2, v0
	v_cmp_gt_i32_e32 vcc, s8, v22
	v_cndmask_b32_e32 v26, v2, v22, vcc
	ds_read_b128 v[12:15], v3 offset:480
	s_waitcnt lgkmcnt(1)
	v_mul_f64 v[20:21], v[6:7], v[6:7]
	v_fmac_f64_e32 v[20:21], v[4:5], v[4:5]
	v_div_scale_f64 v[16:17], s[4:5], v[20:21], v[20:21], 1.0
	v_rcp_f64_e32 v[18:19], v[16:17]
	v_lshlrev_b32_e32 v43, 4, v26
	v_subrev_u32_e32 v42, 32, v3
	v_fma_f64 v[22:23], -v[16:17], v[18:19], 1.0
	v_fmac_f64_e32 v[18:19], v[18:19], v[22:23]
	v_fma_f64 v[22:23], -v[16:17], v[18:19], 1.0
	v_fmac_f64_e32 v[18:19], v[18:19], v[22:23]
	v_div_scale_f64 v[22:23], vcc, 1.0, v[20:21], 1.0
	v_mul_f64 v[24:25], v[22:23], v[18:19]
	v_fma_f64 v[16:17], -v[16:17], v[24:25], v[22:23]
	s_nop 1
	v_div_fmas_f64 v[22:23], v[16:17], v[18:19], v[24:25]
	ds_read_b128 v[16:19], v1
	v_div_fixup_f64 v[32:33], v[22:23], v[20:21], 1.0
	ds_read_b128 v[20:23], v1 offset:1024
	ds_read_b128 v[24:27], v43 offset:256
	s_waitcnt lgkmcnt(2)
	v_mul_f64 v[28:29], v[6:7], v[18:19]
	v_mul_f64 v[6:7], v[6:7], -v[16:17]
	s_waitcnt lgkmcnt(0)
	v_mul_f64 v[36:37], v[26:27], v[26:27]
	v_fmac_f64_e32 v[36:37], v[24:25], v[24:25]
	v_div_scale_f64 v[38:39], s[4:5], v[36:37], v[36:37], 1.0
	v_rcp_f64_e32 v[40:41], v[38:39]
	v_fmac_f64_e32 v[28:29], v[16:17], v[4:5]
	v_fmac_f64_e32 v[6:7], v[18:19], v[4:5]
	v_mul_f64 v[34:35], v[32:33], v[28:29]
	v_fma_f64 v[4:5], -v[38:39], v[40:41], 1.0
	v_fmac_f64_e32 v[40:41], v[40:41], v[4:5]
	v_fma_f64 v[4:5], -v[38:39], v[40:41], 1.0
	v_fmac_f64_e32 v[40:41], v[40:41], v[4:5]
	v_div_scale_f64 v[4:5], vcc, 1.0, v[36:37], 1.0
	v_mul_f64 v[16:17], v[4:5], v[40:41]
	v_mul_f64 v[32:33], v[32:33], v[6:7]
	v_fma_f64 v[18:19], -v[38:39], v[16:17], v[4:5]
	ds_read_b128 v[4:7], v10
	v_div_fmas_f64 v[16:17], v[18:19], v[40:41], v[16:17]
	v_div_fixup_f64 v[36:37], v[16:17], v[36:37], 1.0
	ds_read_b128 v[16:19], v11
	ds_read_b128 v[28:31], v43
	s_waitcnt lgkmcnt(2)
	v_mul_f64 v[38:39], v[26:27], v[6:7]
	v_fmac_f64_e32 v[38:39], v[4:5], v[24:25]
	v_mul_f64 v[4:5], v[26:27], -v[4:5]
	v_fmac_f64_e32 v[4:5], v[6:7], v[24:25]
	ds_read_b128 v[24:27], v43 offset:1024
	v_mul_f64 v[38:39], v[36:37], v[38:39]
	v_mul_f64 v[36:37], v[36:37], v[4:5]
	v_mul_f64 v[4:5], v[32:33], -v[14:15]
	v_mul_f64 v[6:7], v[32:33], v[12:13]
	v_fmac_f64_e32 v[4:5], v[12:13], v[34:35]
	v_fmac_f64_e32 v[6:7], v[14:15], v[34:35]
	s_waitcnt lgkmcnt(2)
	v_add_f64 v[12:13], v[16:17], -v[4:5]
	v_add_f64 v[14:15], v[18:19], -v[6:7]
	ds_read_b128 v[4:7], v3 offset:992
	s_waitcnt lgkmcnt(2)
	v_mul_f64 v[16:17], v[36:37], -v[30:31]
	v_mul_f64 v[18:19], v[36:37], v[28:29]
	v_fmac_f64_e32 v[16:17], v[28:29], v[38:39]
	v_fmac_f64_e32 v[18:19], v[30:31], v[38:39]
	v_add_f64 v[12:13], v[12:13], -v[16:17]
	v_add_f64 v[14:15], v[14:15], -v[18:19]
	ds_read_b128 v[16:19], v42
	s_waitcnt lgkmcnt(1)
	v_mul_f64 v[28:29], v[32:33], -v[6:7]
	v_fmac_f64_e32 v[28:29], v[4:5], v[34:35]
	v_mul_f64 v[4:5], v[32:33], v[4:5]
	v_fmac_f64_e32 v[4:5], v[6:7], v[34:35]
	v_add_f64 v[20:21], v[20:21], -v[28:29]
	v_add_f64 v[22:23], v[22:23], -v[4:5]
	ds_read_b128 v[4:7], v43 offset:512
	v_mul_f64 v[28:29], v[36:37], -v[26:27]
	v_fmac_f64_e32 v[28:29], v[24:25], v[38:39]
	v_mul_f64 v[24:25], v[36:37], v[24:25]
	v_fmac_f64_e32 v[24:25], v[26:27], v[38:39]
	v_add_f64 v[22:23], v[22:23], -v[24:25]
	s_waitcnt lgkmcnt(1)
	v_mul_f64 v[24:25], v[32:33], v[18:19]
	v_fma_f64 v[24:25], -v[16:17], v[34:35], v[24:25]
	v_mul_f64 v[16:17], v[32:33], -v[16:17]
	v_fma_f64 v[26:27], -v[18:19], v[34:35], v[16:17]
	s_waitcnt lgkmcnt(0)
	v_mul_f64 v[16:17], v[36:37], v[6:7]
	v_max_u32_e32 v3, 4, v0
	v_fma_f64 v[16:17], -v[4:5], v[38:39], v[16:17]
	v_mul_f64 v[4:5], v[36:37], -v[4:5]
	v_lshlrev_b32_e32 v40, 4, v3
	v_add_f64 v[20:21], v[20:21], -v[28:29]
	v_fma_f64 v[18:19], -v[6:7], v[38:39], v[4:5]
	s_waitcnt lgkmcnt(0)
	; wave barrier
	ds_write_b128 v11, v[12:15]
	ds_write_b128 v1, v[20:23] offset:1024
	ds_write_b128 v1, v[24:27]
	ds_write_b128 v10, v[16:19]
	s_waitcnt lgkmcnt(0)
	; wave barrier
	s_waitcnt lgkmcnt(0)
	ds_read_b128 v[4:7], v40 offset:192
	v_add_u32_e32 v3, 4, v0
	v_cmp_gt_i32_e32 vcc, s8, v3
	v_cndmask_b32_e32 v24, v2, v3, vcc
	ds_read_b128 v[12:15], v40 offset:448
	s_waitcnt lgkmcnt(1)
	v_mul_f64 v[20:21], v[6:7], v[6:7]
	v_fmac_f64_e32 v[20:21], v[4:5], v[4:5]
	v_div_scale_f64 v[16:17], s[4:5], v[20:21], v[20:21], 1.0
	v_rcp_f64_e32 v[18:19], v[16:17]
	v_lshlrev_b32_e32 v42, 4, v24
	v_subrev_u32_e32 v41, 64, v40
	v_fma_f64 v[2:3], -v[16:17], v[18:19], 1.0
	v_fmac_f64_e32 v[18:19], v[18:19], v[2:3]
	v_fma_f64 v[2:3], -v[16:17], v[18:19], 1.0
	v_fmac_f64_e32 v[18:19], v[18:19], v[2:3]
	v_div_scale_f64 v[2:3], vcc, 1.0, v[20:21], 1.0
	v_mul_f64 v[22:23], v[2:3], v[18:19]
	v_fma_f64 v[2:3], -v[16:17], v[22:23], v[2:3]
	s_nop 1
	v_div_fmas_f64 v[2:3], v[2:3], v[18:19], v[22:23]
	ds_read_b128 v[16:19], v1
	v_div_fixup_f64 v[2:3], v[2:3], v[20:21], 1.0
	ds_read_b128 v[20:23], v1 offset:1024
	ds_read_b128 v[24:27], v42 offset:256
	s_waitcnt lgkmcnt(2)
	v_mul_f64 v[28:29], v[6:7], v[18:19]
	v_mul_f64 v[6:7], v[6:7], -v[16:17]
	s_waitcnt lgkmcnt(0)
	v_mul_f64 v[34:35], v[26:27], v[26:27]
	v_fmac_f64_e32 v[34:35], v[24:25], v[24:25]
	v_div_scale_f64 v[36:37], s[4:5], v[34:35], v[34:35], 1.0
	v_rcp_f64_e32 v[38:39], v[36:37]
	v_fmac_f64_e32 v[28:29], v[16:17], v[4:5]
	v_fmac_f64_e32 v[6:7], v[18:19], v[4:5]
	v_mul_f64 v[32:33], v[2:3], v[28:29]
	v_mul_f64 v[6:7], v[2:3], v[6:7]
	v_fma_f64 v[2:3], -v[36:37], v[38:39], 1.0
	v_fmac_f64_e32 v[38:39], v[38:39], v[2:3]
	v_fma_f64 v[2:3], -v[36:37], v[38:39], 1.0
	v_fmac_f64_e32 v[38:39], v[38:39], v[2:3]
	v_div_scale_f64 v[2:3], vcc, 1.0, v[34:35], 1.0
	v_mul_f64 v[16:17], v[2:3], v[38:39]
	v_fma_f64 v[18:19], -v[36:37], v[16:17], v[2:3]
	ds_read_b128 v[2:5], v10
	s_nop 0
	v_div_fmas_f64 v[16:17], v[18:19], v[38:39], v[16:17]
	v_div_fixup_f64 v[34:35], v[16:17], v[34:35], 1.0
	ds_read_b128 v[16:19], v11
	ds_read_b128 v[28:31], v42
	s_waitcnt lgkmcnt(2)
	v_mul_f64 v[36:37], v[26:27], v[4:5]
	v_fmac_f64_e32 v[36:37], v[2:3], v[24:25]
	v_mul_f64 v[2:3], v[26:27], -v[2:3]
	v_fmac_f64_e32 v[2:3], v[4:5], v[24:25]
	ds_read_b128 v[24:27], v42 offset:1024
	v_mul_f64 v[36:37], v[34:35], v[36:37]
	v_mul_f64 v[34:35], v[34:35], v[2:3]
	v_mul_f64 v[2:3], v[6:7], -v[14:15]
	v_mul_f64 v[4:5], v[6:7], v[12:13]
	v_fmac_f64_e32 v[2:3], v[12:13], v[32:33]
	v_fmac_f64_e32 v[4:5], v[14:15], v[32:33]
	s_waitcnt lgkmcnt(2)
	v_add_f64 v[12:13], v[16:17], -v[2:3]
	v_add_f64 v[14:15], v[18:19], -v[4:5]
	ds_read_b128 v[2:5], v40 offset:960
	s_waitcnt lgkmcnt(2)
	v_mul_f64 v[16:17], v[34:35], -v[30:31]
	v_mul_f64 v[18:19], v[34:35], v[28:29]
	v_fmac_f64_e32 v[16:17], v[28:29], v[36:37]
	v_fmac_f64_e32 v[18:19], v[30:31], v[36:37]
	v_add_f64 v[12:13], v[12:13], -v[16:17]
	v_add_f64 v[14:15], v[14:15], -v[18:19]
	ds_read_b128 v[16:19], v41
	s_waitcnt lgkmcnt(1)
	v_mul_f64 v[28:29], v[6:7], -v[4:5]
	v_fmac_f64_e32 v[28:29], v[2:3], v[32:33]
	v_mul_f64 v[2:3], v[6:7], v[2:3]
	v_fmac_f64_e32 v[2:3], v[4:5], v[32:33]
	v_add_f64 v[22:23], v[22:23], -v[2:3]
	ds_read_b128 v[2:5], v42 offset:512
	v_add_f64 v[20:21], v[20:21], -v[28:29]
	v_mul_f64 v[28:29], v[34:35], -v[26:27]
	v_fmac_f64_e32 v[28:29], v[24:25], v[36:37]
	v_mul_f64 v[24:25], v[34:35], v[24:25]
	v_fmac_f64_e32 v[24:25], v[26:27], v[36:37]
	v_add_f64 v[22:23], v[22:23], -v[24:25]
	s_waitcnt lgkmcnt(1)
	v_mul_f64 v[24:25], v[6:7], v[18:19]
	v_mul_f64 v[6:7], v[6:7], -v[16:17]
	v_fma_f64 v[26:27], -v[18:19], v[32:33], v[6:7]
	s_waitcnt lgkmcnt(0)
	v_mul_f64 v[6:7], v[34:35], v[4:5]
	v_fma_f64 v[24:25], -v[16:17], v[32:33], v[24:25]
	v_fma_f64 v[16:17], -v[2:3], v[36:37], v[6:7]
	v_mul_f64 v[2:3], v[34:35], -v[2:3]
	v_cmp_gt_u32_e32 vcc, 8, v0
	v_add_f64 v[20:21], v[20:21], -v[28:29]
	v_fma_f64 v[18:19], -v[4:5], v[36:37], v[2:3]
	s_waitcnt lgkmcnt(0)
	; wave barrier
	ds_write_b128 v11, v[12:15]
	ds_write_b128 v1, v[20:23] offset:1024
	ds_write_b128 v1, v[24:27]
	ds_write_b128 v10, v[16:19]
	s_waitcnt lgkmcnt(0)
	; wave barrier
	s_waitcnt lgkmcnt(0)
	s_and_saveexec_b64 s[4:5], vcc
	s_cbranch_execz .LBB74_14
; %bb.9:
	v_or_b32_e32 v6, 8, v0
	v_or_b32_e32 v7, 0x400, v1
	v_cmp_le_i32_e32 vcc, s8, v6
                                        ; implicit-def: $vgpr4_vgpr5
	s_and_saveexec_b64 s[6:7], vcc
	s_xor_b64 s[6:7], exec, s[6:7]
	s_cbranch_execz .LBB74_11
; %bb.10:
	ds_read_b128 v[10:13], v11
	ds_read_b128 v[4:7], v7
	s_waitcnt lgkmcnt(1)
	v_mul_f64 v[2:3], v[12:13], v[12:13]
	v_fmac_f64_e32 v[2:3], v[10:11], v[10:11]
	v_div_scale_f64 v[16:17], s[8:9], v[2:3], v[2:3], 1.0
	v_rcp_f64_e32 v[18:19], v[16:17]
	v_div_scale_f64 v[20:21], vcc, 1.0, v[2:3], 1.0
	s_waitcnt lgkmcnt(0)
	v_mul_f64 v[14:15], v[12:13], v[6:7]
	v_fma_f64 v[22:23], -v[16:17], v[18:19], 1.0
	v_fmac_f64_e32 v[18:19], v[18:19], v[22:23]
	v_fma_f64 v[22:23], -v[16:17], v[18:19], 1.0
	v_fmac_f64_e32 v[18:19], v[18:19], v[22:23]
	v_mul_f64 v[22:23], v[20:21], v[18:19]
	v_fma_f64 v[16:17], -v[16:17], v[22:23], v[20:21]
	v_fmac_f64_e32 v[14:15], v[4:5], v[10:11]
	v_div_fmas_f64 v[16:17], v[16:17], v[18:19], v[22:23]
	v_mul_f64 v[4:5], v[12:13], -v[4:5]
	v_div_fixup_f64 v[16:17], v[16:17], v[2:3], 1.0
	v_fmac_f64_e32 v[4:5], v[6:7], v[10:11]
	v_mul_f64 v[2:3], v[16:17], v[14:15]
	v_mul_f64 v[4:5], v[16:17], v[4:5]
                                        ; implicit-def: $vgpr11
                                        ; implicit-def: $vgpr10
                                        ; implicit-def: $vgpr7
                                        ; implicit-def: $vgpr6
.LBB74_11:
	s_andn2_saveexec_b64 s[6:7], s[6:7]
	s_cbranch_execz .LBB74_13
; %bb.12:
	ds_read_b128 v[2:5], v11 offset:128
	ds_read_b128 v[12:15], v11
	ds_read_b128 v[16:19], v1 offset:128
	ds_read_b128 v[20:23], v10
	v_mov_b32_e32 v0, v6
	s_waitcnt lgkmcnt(2)
	v_mul_f64 v[24:25], v[14:15], v[2:3]
	v_mul_f64 v[10:11], v[14:15], -v[4:5]
	s_waitcnt lgkmcnt(0)
	v_mul_f64 v[28:29], v[18:19], v[20:21]
	v_fmac_f64_e32 v[24:25], v[4:5], v[12:13]
	v_mul_f64 v[26:27], v[18:19], -v[22:23]
	v_fmac_f64_e32 v[28:29], v[22:23], v[16:17]
	v_fmac_f64_e32 v[10:11], v[2:3], v[12:13]
	;; [unrolled: 1-line block ×3, first 2 shown]
	v_add_f64 v[28:29], v[24:25], -v[28:29]
	v_add_f64 v[10:11], v[10:11], -v[26:27]
	v_mul_f64 v[24:25], v[28:29], v[28:29]
	v_fmac_f64_e32 v[24:25], v[10:11], v[10:11]
	v_div_scale_f64 v[26:27], s[8:9], v[24:25], v[24:25], 1.0
	v_rcp_f64_e32 v[30:31], v[26:27]
	v_fma_f64 v[32:33], -v[26:27], v[30:31], 1.0
	v_fmac_f64_e32 v[30:31], v[30:31], v[32:33]
	v_fma_f64 v[32:33], -v[26:27], v[30:31], 1.0
	v_fmac_f64_e32 v[30:31], v[30:31], v[32:33]
	v_div_scale_f64 v[32:33], vcc, 1.0, v[24:25], 1.0
	v_mul_f64 v[34:35], v[32:33], v[30:31]
	v_fma_f64 v[26:27], -v[26:27], v[34:35], v[32:33]
	v_fma_f64 v[32:33], 0, v[28:29], v[10:11]
	s_nop 0
	v_div_fmas_f64 v[26:27], v[26:27], v[30:31], v[34:35]
	v_div_fixup_f64 v[30:31], v[26:27], v[24:25], 1.0
	ds_read_b128 v[24:27], v7
	v_fma_f64 v[10:11], v[10:11], 0, -v[28:29]
	v_mul_f64 v[32:33], v[32:33], v[30:31]
	v_mul_f64 v[10:11], v[10:11], v[30:31]
	ds_read_b128 v[28:31], v7 offset:128
	s_waitcnt lgkmcnt(1)
	v_mul_f64 v[34:35], v[26:27], -v[4:5]
	v_fmac_f64_e32 v[34:35], v[2:3], v[24:25]
	v_mul_f64 v[2:3], v[2:3], v[26:27]
	v_fmac_f64_e32 v[2:3], v[4:5], v[24:25]
	s_waitcnt lgkmcnt(0)
	v_mul_f64 v[4:5], v[30:31], -v[22:23]
	v_fmac_f64_e32 v[4:5], v[20:21], v[28:29]
	v_mul_f64 v[20:21], v[20:21], v[30:31]
	v_fmac_f64_e32 v[20:21], v[22:23], v[28:29]
	v_add_f64 v[20:21], v[2:3], -v[20:21]
	v_add_f64 v[4:5], v[34:35], -v[4:5]
	v_mul_f64 v[2:3], v[10:11], -v[20:21]
	v_fmac_f64_e32 v[2:3], v[4:5], v[32:33]
	v_mul_f64 v[4:5], v[10:11], v[4:5]
	v_fmac_f64_e32 v[4:5], v[20:21], v[32:33]
	ds_write_b128 v1, v[2:5] offset:768
	v_mul_f64 v[2:3], v[14:15], -v[30:31]
	v_mul_f64 v[4:5], v[14:15], v[28:29]
	v_fmac_f64_e32 v[2:3], v[28:29], v[12:13]
	v_fmac_f64_e32 v[4:5], v[30:31], v[12:13]
	v_mul_f64 v[12:13], v[18:19], -v[26:27]
	v_mul_f64 v[14:15], v[18:19], v[24:25]
	v_fmac_f64_e32 v[12:13], v[24:25], v[16:17]
	v_fmac_f64_e32 v[14:15], v[26:27], v[16:17]
	v_add_f64 v[12:13], v[2:3], -v[12:13]
	v_add_f64 v[14:15], v[4:5], -v[14:15]
	v_mul_f64 v[2:3], v[10:11], -v[14:15]
	v_mul_f64 v[4:5], v[10:11], v[12:13]
	v_fmac_f64_e32 v[2:3], v[12:13], v[32:33]
	v_fmac_f64_e32 v[4:5], v[14:15], v[32:33]
.LBB74_13:
	s_or_b64 exec, exec, s[6:7]
	v_lshlrev_b32_e32 v0, 4, v0
	ds_write_b128 v0, v[2:5] offset:768
.LBB74_14:
	s_or_b64 exec, exec, s[4:5]
	s_waitcnt lgkmcnt(0)
	; wave barrier
	s_waitcnt lgkmcnt(0)
	s_and_saveexec_b64 s[4:5], s[0:1]
	s_cbranch_execz .LBB74_16
; %bb.15:
	ds_read2_b64 v[0:3], v1 offset0:96 offset1:97
	v_lshlrev_b64 v[4:5], 4, v[8:9]
	v_mov_b32_e32 v6, s3
	v_add_co_u32_e32 v4, vcc, s2, v4
	v_addc_co_u32_e32 v5, vcc, v6, v5, vcc
	s_waitcnt lgkmcnt(0)
	global_store_dwordx4 v[4:5], v[0:3], off
.LBB74_16:
	s_endpgm
	.section	.rodata,"a",@progbits
	.p2align	6, 0x0
	.amdhsa_kernel _ZN9rocsparseL44gtsv_nopivot_strided_batch_pcr_shared_kernelILj16E21rocsparse_complex_numIdEEEviiiPKT0_S5_S5_PS3_
		.amdhsa_group_segment_fixed_size 1280
		.amdhsa_private_segment_fixed_size 0
		.amdhsa_kernarg_size 48
		.amdhsa_user_sgpr_count 6
		.amdhsa_user_sgpr_private_segment_buffer 1
		.amdhsa_user_sgpr_dispatch_ptr 0
		.amdhsa_user_sgpr_queue_ptr 0
		.amdhsa_user_sgpr_kernarg_segment_ptr 1
		.amdhsa_user_sgpr_dispatch_id 0
		.amdhsa_user_sgpr_flat_scratch_init 0
		.amdhsa_user_sgpr_kernarg_preload_length 0
		.amdhsa_user_sgpr_kernarg_preload_offset 0
		.amdhsa_user_sgpr_private_segment_size 0
		.amdhsa_uses_dynamic_stack 0
		.amdhsa_system_sgpr_private_segment_wavefront_offset 0
		.amdhsa_system_sgpr_workgroup_id_x 1
		.amdhsa_system_sgpr_workgroup_id_y 0
		.amdhsa_system_sgpr_workgroup_id_z 0
		.amdhsa_system_sgpr_workgroup_info 0
		.amdhsa_system_vgpr_workitem_id 0
		.amdhsa_next_free_vgpr 44
		.amdhsa_next_free_sgpr 10
		.amdhsa_accum_offset 44
		.amdhsa_reserve_vcc 1
		.amdhsa_reserve_flat_scratch 0
		.amdhsa_float_round_mode_32 0
		.amdhsa_float_round_mode_16_64 0
		.amdhsa_float_denorm_mode_32 3
		.amdhsa_float_denorm_mode_16_64 3
		.amdhsa_dx10_clamp 1
		.amdhsa_ieee_mode 1
		.amdhsa_fp16_overflow 0
		.amdhsa_tg_split 0
		.amdhsa_exception_fp_ieee_invalid_op 0
		.amdhsa_exception_fp_denorm_src 0
		.amdhsa_exception_fp_ieee_div_zero 0
		.amdhsa_exception_fp_ieee_overflow 0
		.amdhsa_exception_fp_ieee_underflow 0
		.amdhsa_exception_fp_ieee_inexact 0
		.amdhsa_exception_int_div_zero 0
	.end_amdhsa_kernel
	.section	.text._ZN9rocsparseL44gtsv_nopivot_strided_batch_pcr_shared_kernelILj16E21rocsparse_complex_numIdEEEviiiPKT0_S5_S5_PS3_,"axG",@progbits,_ZN9rocsparseL44gtsv_nopivot_strided_batch_pcr_shared_kernelILj16E21rocsparse_complex_numIdEEEviiiPKT0_S5_S5_PS3_,comdat
.Lfunc_end74:
	.size	_ZN9rocsparseL44gtsv_nopivot_strided_batch_pcr_shared_kernelILj16E21rocsparse_complex_numIdEEEviiiPKT0_S5_S5_PS3_, .Lfunc_end74-_ZN9rocsparseL44gtsv_nopivot_strided_batch_pcr_shared_kernelILj16E21rocsparse_complex_numIdEEEviiiPKT0_S5_S5_PS3_
                                        ; -- End function
	.section	.AMDGPU.csdata,"",@progbits
; Kernel info:
; codeLenInByte = 3184
; NumSgprs: 14
; NumVgprs: 44
; NumAgprs: 0
; TotalNumVgprs: 44
; ScratchSize: 0
; MemoryBound: 1
; FloatMode: 240
; IeeeMode: 1
; LDSByteSize: 1280 bytes/workgroup (compile time only)
; SGPRBlocks: 1
; VGPRBlocks: 5
; NumSGPRsForWavesPerEU: 14
; NumVGPRsForWavesPerEU: 44
; AccumOffset: 44
; Occupancy: 8
; WaveLimiterHint : 0
; COMPUTE_PGM_RSRC2:SCRATCH_EN: 0
; COMPUTE_PGM_RSRC2:USER_SGPR: 6
; COMPUTE_PGM_RSRC2:TRAP_HANDLER: 0
; COMPUTE_PGM_RSRC2:TGID_X_EN: 1
; COMPUTE_PGM_RSRC2:TGID_Y_EN: 0
; COMPUTE_PGM_RSRC2:TGID_Z_EN: 0
; COMPUTE_PGM_RSRC2:TIDIG_COMP_CNT: 0
; COMPUTE_PGM_RSRC3_GFX90A:ACCUM_OFFSET: 10
; COMPUTE_PGM_RSRC3_GFX90A:TG_SPLIT: 0
	.section	.text._ZN9rocsparseL44gtsv_nopivot_strided_batch_pcr_shared_kernelILj32E21rocsparse_complex_numIdEEEviiiPKT0_S5_S5_PS3_,"axG",@progbits,_ZN9rocsparseL44gtsv_nopivot_strided_batch_pcr_shared_kernelILj32E21rocsparse_complex_numIdEEEviiiPKT0_S5_S5_PS3_,comdat
	.globl	_ZN9rocsparseL44gtsv_nopivot_strided_batch_pcr_shared_kernelILj32E21rocsparse_complex_numIdEEEviiiPKT0_S5_S5_PS3_ ; -- Begin function _ZN9rocsparseL44gtsv_nopivot_strided_batch_pcr_shared_kernelILj32E21rocsparse_complex_numIdEEEviiiPKT0_S5_S5_PS3_
	.p2align	8
	.type	_ZN9rocsparseL44gtsv_nopivot_strided_batch_pcr_shared_kernelILj32E21rocsparse_complex_numIdEEEviiiPKT0_S5_S5_PS3_,@function
_ZN9rocsparseL44gtsv_nopivot_strided_batch_pcr_shared_kernelILj32E21rocsparse_complex_numIdEEEviiiPKT0_S5_S5_PS3_: ; @_ZN9rocsparseL44gtsv_nopivot_strided_batch_pcr_shared_kernelILj32E21rocsparse_complex_numIdEEEviiiPKT0_S5_S5_PS3_
; %bb.0:
	s_load_dword s0, s[4:5], 0x8
	s_load_dword s8, s[4:5], 0x0
	v_pk_mov_b32 v[2:3], 0, 0
	v_pk_mov_b32 v[4:5], v[2:3], v[2:3] op_sel:[0,1]
	v_pk_mov_b32 v[6:7], v[2:3], v[2:3] op_sel:[0,1]
	s_waitcnt lgkmcnt(0)
	s_mul_i32 s6, s6, s0
	v_add_u32_e32 v8, s6, v0
	v_cmp_gt_i32_e64 s[0:1], s8, v0
	v_ashrrev_i32_e32 v9, 31, v8
	s_and_saveexec_b64 s[2:3], s[0:1]
	s_cbranch_execz .LBB75_2
; %bb.1:
	s_load_dwordx2 s[6:7], s[4:5], 0x10
	v_lshlrev_b64 v[4:5], 4, v[8:9]
	s_waitcnt lgkmcnt(0)
	v_mov_b32_e32 v1, s7
	v_add_co_u32_e32 v4, vcc, s6, v4
	v_addc_co_u32_e32 v5, vcc, v1, v5, vcc
	global_load_dwordx4 v[4:7], v[4:5], off
.LBB75_2:
	s_or_b64 exec, exec, s[2:3]
	v_lshlrev_b32_e32 v1, 4, v0
	s_waitcnt vmcnt(0)
	ds_write_b128 v1, v[4:7]
	v_pk_mov_b32 v[4:5], v[2:3], v[2:3] op_sel:[0,1]
	s_and_saveexec_b64 s[2:3], s[0:1]
	s_cbranch_execz .LBB75_4
; %bb.3:
	s_load_dwordx2 s[6:7], s[4:5], 0x18
	v_lshlrev_b64 v[2:3], 4, v[8:9]
	s_waitcnt lgkmcnt(0)
	v_mov_b32_e32 v4, s7
	v_add_co_u32_e32 v2, vcc, s6, v2
	v_addc_co_u32_e32 v3, vcc, v4, v3, vcc
	global_load_dwordx4 v[2:5], v[2:3], off
.LBB75_4:
	s_or_b64 exec, exec, s[2:3]
	s_load_dwordx2 s[2:3], s[4:5], 0x28
	s_waitcnt vmcnt(0)
	ds_write_b128 v1, v[2:5] offset:512
	v_pk_mov_b32 v[2:3], 0, 0
	v_pk_mov_b32 v[4:5], v[2:3], v[2:3] op_sel:[0,1]
	v_pk_mov_b32 v[6:7], v[2:3], v[2:3] op_sel:[0,1]
	s_and_saveexec_b64 s[6:7], s[0:1]
	s_cbranch_execz .LBB75_6
; %bb.5:
	s_load_dwordx2 s[4:5], s[4:5], 0x20
	v_lshlrev_b64 v[4:5], 4, v[8:9]
	s_waitcnt lgkmcnt(0)
	v_mov_b32_e32 v6, s5
	v_add_co_u32_e32 v4, vcc, s4, v4
	v_addc_co_u32_e32 v5, vcc, v6, v5, vcc
	global_load_dwordx4 v[4:7], v[4:5], off
.LBB75_6:
	s_or_b64 exec, exec, s[6:7]
	v_or_b32_e32 v11, 0x200, v1
	v_or_b32_e32 v10, 0x400, v1
	s_waitcnt vmcnt(0)
	ds_write_b128 v1, v[4:7] offset:1024
	v_pk_mov_b32 v[4:5], v[2:3], v[2:3] op_sel:[0,1]
	s_and_saveexec_b64 s[4:5], s[0:1]
	s_cbranch_execz .LBB75_8
; %bb.7:
	v_lshlrev_b64 v[2:3], 4, v[8:9]
	s_waitcnt lgkmcnt(0)
	v_mov_b32_e32 v4, s3
	v_add_co_u32_e32 v2, vcc, s2, v2
	v_addc_co_u32_e32 v3, vcc, v4, v3, vcc
	global_load_dwordx4 v[2:5], v[2:3], off
.LBB75_8:
	s_or_b64 exec, exec, s[4:5]
	s_waitcnt vmcnt(0)
	ds_write_b128 v1, v[2:5] offset:2048
	v_max_u32_e32 v2, 1, v0
	v_lshlrev_b32_e32 v3, 4, v2
	s_waitcnt lgkmcnt(0)
	; wave barrier
	s_waitcnt lgkmcnt(0)
	ds_read_b128 v[4:7], v3 offset:496
	s_add_i32 s4, s8, -1
	v_mov_b32_e32 v2, s4
	v_add_u32_e32 v22, 1, v0
	v_cmp_gt_i32_e32 vcc, s8, v22
	s_waitcnt lgkmcnt(0)
	v_mul_f64 v[20:21], v[6:7], v[6:7]
	v_fmac_f64_e32 v[20:21], v[4:5], v[4:5]
	v_div_scale_f64 v[16:17], s[4:5], v[20:21], v[20:21], 1.0
	v_rcp_f64_e32 v[18:19], v[16:17]
	v_cndmask_b32_e32 v26, v2, v22, vcc
	ds_read_b128 v[12:15], v3 offset:1008
	v_lshlrev_b32_e32 v43, 4, v26
	v_fma_f64 v[22:23], -v[16:17], v[18:19], 1.0
	v_fmac_f64_e32 v[18:19], v[18:19], v[22:23]
	v_fma_f64 v[22:23], -v[16:17], v[18:19], 1.0
	v_fmac_f64_e32 v[18:19], v[18:19], v[22:23]
	v_div_scale_f64 v[22:23], vcc, 1.0, v[20:21], 1.0
	v_mul_f64 v[24:25], v[22:23], v[18:19]
	v_fma_f64 v[16:17], -v[16:17], v[24:25], v[22:23]
	v_add_u32_e32 v42, -16, v3
	s_nop 0
	v_div_fmas_f64 v[22:23], v[16:17], v[18:19], v[24:25]
	ds_read_b128 v[16:19], v1
	v_div_fixup_f64 v[32:33], v[22:23], v[20:21], 1.0
	ds_read_b128 v[20:23], v1 offset:2048
	ds_read_b128 v[24:27], v43 offset:512
	s_waitcnt lgkmcnt(2)
	v_mul_f64 v[28:29], v[6:7], v[18:19]
	v_mul_f64 v[6:7], v[6:7], -v[16:17]
	s_waitcnt lgkmcnt(0)
	v_mul_f64 v[36:37], v[26:27], v[26:27]
	v_fmac_f64_e32 v[36:37], v[24:25], v[24:25]
	v_div_scale_f64 v[38:39], s[4:5], v[36:37], v[36:37], 1.0
	v_rcp_f64_e32 v[40:41], v[38:39]
	v_fmac_f64_e32 v[28:29], v[16:17], v[4:5]
	v_fmac_f64_e32 v[6:7], v[18:19], v[4:5]
	v_mul_f64 v[34:35], v[32:33], v[28:29]
	v_fma_f64 v[4:5], -v[38:39], v[40:41], 1.0
	v_fmac_f64_e32 v[40:41], v[40:41], v[4:5]
	v_fma_f64 v[4:5], -v[38:39], v[40:41], 1.0
	v_fmac_f64_e32 v[40:41], v[40:41], v[4:5]
	v_div_scale_f64 v[4:5], vcc, 1.0, v[36:37], 1.0
	v_mul_f64 v[16:17], v[4:5], v[40:41]
	v_mul_f64 v[32:33], v[32:33], v[6:7]
	v_fma_f64 v[18:19], -v[38:39], v[16:17], v[4:5]
	ds_read_b128 v[4:7], v10
	v_div_fmas_f64 v[16:17], v[18:19], v[40:41], v[16:17]
	v_div_fixup_f64 v[36:37], v[16:17], v[36:37], 1.0
	ds_read_b128 v[16:19], v11
	ds_read_b128 v[28:31], v43
	s_waitcnt lgkmcnt(2)
	v_mul_f64 v[38:39], v[26:27], v[6:7]
	v_fmac_f64_e32 v[38:39], v[4:5], v[24:25]
	v_mul_f64 v[4:5], v[26:27], -v[4:5]
	v_fmac_f64_e32 v[4:5], v[6:7], v[24:25]
	ds_read_b128 v[24:27], v43 offset:2048
	v_mul_f64 v[38:39], v[36:37], v[38:39]
	v_mul_f64 v[36:37], v[36:37], v[4:5]
	v_mul_f64 v[4:5], v[32:33], -v[14:15]
	v_mul_f64 v[6:7], v[32:33], v[12:13]
	v_fmac_f64_e32 v[4:5], v[12:13], v[34:35]
	v_fmac_f64_e32 v[6:7], v[14:15], v[34:35]
	s_waitcnt lgkmcnt(2)
	v_add_f64 v[12:13], v[16:17], -v[4:5]
	v_add_f64 v[14:15], v[18:19], -v[6:7]
	ds_read_b128 v[4:7], v3 offset:2032
	s_waitcnt lgkmcnt(2)
	v_mul_f64 v[16:17], v[36:37], -v[30:31]
	v_mul_f64 v[18:19], v[36:37], v[28:29]
	v_fmac_f64_e32 v[16:17], v[28:29], v[38:39]
	v_fmac_f64_e32 v[18:19], v[30:31], v[38:39]
	v_add_f64 v[12:13], v[12:13], -v[16:17]
	v_add_f64 v[14:15], v[14:15], -v[18:19]
	ds_read_b128 v[16:19], v42
	s_waitcnt lgkmcnt(1)
	v_mul_f64 v[28:29], v[32:33], -v[6:7]
	v_fmac_f64_e32 v[28:29], v[4:5], v[34:35]
	v_mul_f64 v[4:5], v[32:33], v[4:5]
	v_fmac_f64_e32 v[4:5], v[6:7], v[34:35]
	v_add_f64 v[20:21], v[20:21], -v[28:29]
	v_add_f64 v[22:23], v[22:23], -v[4:5]
	ds_read_b128 v[4:7], v43 offset:1024
	v_mul_f64 v[28:29], v[36:37], -v[26:27]
	v_fmac_f64_e32 v[28:29], v[24:25], v[38:39]
	v_mul_f64 v[24:25], v[36:37], v[24:25]
	v_fmac_f64_e32 v[24:25], v[26:27], v[38:39]
	v_add_f64 v[22:23], v[22:23], -v[24:25]
	s_waitcnt lgkmcnt(1)
	v_mul_f64 v[24:25], v[32:33], v[18:19]
	v_fma_f64 v[24:25], -v[16:17], v[34:35], v[24:25]
	v_mul_f64 v[16:17], v[32:33], -v[16:17]
	v_fma_f64 v[26:27], -v[18:19], v[34:35], v[16:17]
	s_waitcnt lgkmcnt(0)
	v_mul_f64 v[16:17], v[36:37], v[6:7]
	v_max_u32_e32 v3, 2, v0
	v_fma_f64 v[16:17], -v[4:5], v[38:39], v[16:17]
	v_mul_f64 v[4:5], v[36:37], -v[4:5]
	v_lshlrev_b32_e32 v3, 4, v3
	v_add_f64 v[20:21], v[20:21], -v[28:29]
	v_fma_f64 v[18:19], -v[6:7], v[38:39], v[4:5]
	s_waitcnt lgkmcnt(0)
	; wave barrier
	ds_write_b128 v11, v[12:15]
	ds_write_b128 v1, v[20:23] offset:2048
	ds_write_b128 v1, v[24:27]
	ds_write_b128 v10, v[16:19]
	s_waitcnt lgkmcnt(0)
	; wave barrier
	s_waitcnt lgkmcnt(0)
	ds_read_b128 v[4:7], v3 offset:480
	v_add_u32_e32 v22, 2, v0
	v_cmp_gt_i32_e32 vcc, s8, v22
	v_cndmask_b32_e32 v26, v2, v22, vcc
	ds_read_b128 v[12:15], v3 offset:992
	s_waitcnt lgkmcnt(1)
	v_mul_f64 v[20:21], v[6:7], v[6:7]
	v_fmac_f64_e32 v[20:21], v[4:5], v[4:5]
	v_div_scale_f64 v[16:17], s[4:5], v[20:21], v[20:21], 1.0
	v_rcp_f64_e32 v[18:19], v[16:17]
	v_lshlrev_b32_e32 v43, 4, v26
	v_subrev_u32_e32 v42, 32, v3
	v_fma_f64 v[22:23], -v[16:17], v[18:19], 1.0
	v_fmac_f64_e32 v[18:19], v[18:19], v[22:23]
	v_fma_f64 v[22:23], -v[16:17], v[18:19], 1.0
	v_fmac_f64_e32 v[18:19], v[18:19], v[22:23]
	v_div_scale_f64 v[22:23], vcc, 1.0, v[20:21], 1.0
	v_mul_f64 v[24:25], v[22:23], v[18:19]
	v_fma_f64 v[16:17], -v[16:17], v[24:25], v[22:23]
	s_nop 1
	v_div_fmas_f64 v[22:23], v[16:17], v[18:19], v[24:25]
	ds_read_b128 v[16:19], v1
	v_div_fixup_f64 v[32:33], v[22:23], v[20:21], 1.0
	ds_read_b128 v[20:23], v1 offset:2048
	ds_read_b128 v[24:27], v43 offset:512
	s_waitcnt lgkmcnt(2)
	v_mul_f64 v[28:29], v[6:7], v[18:19]
	v_mul_f64 v[6:7], v[6:7], -v[16:17]
	s_waitcnt lgkmcnt(0)
	v_mul_f64 v[36:37], v[26:27], v[26:27]
	v_fmac_f64_e32 v[36:37], v[24:25], v[24:25]
	v_div_scale_f64 v[38:39], s[4:5], v[36:37], v[36:37], 1.0
	v_rcp_f64_e32 v[40:41], v[38:39]
	v_fmac_f64_e32 v[28:29], v[16:17], v[4:5]
	v_fmac_f64_e32 v[6:7], v[18:19], v[4:5]
	v_mul_f64 v[34:35], v[32:33], v[28:29]
	v_fma_f64 v[4:5], -v[38:39], v[40:41], 1.0
	v_fmac_f64_e32 v[40:41], v[40:41], v[4:5]
	v_fma_f64 v[4:5], -v[38:39], v[40:41], 1.0
	v_fmac_f64_e32 v[40:41], v[40:41], v[4:5]
	v_div_scale_f64 v[4:5], vcc, 1.0, v[36:37], 1.0
	v_mul_f64 v[16:17], v[4:5], v[40:41]
	v_mul_f64 v[32:33], v[32:33], v[6:7]
	v_fma_f64 v[18:19], -v[38:39], v[16:17], v[4:5]
	ds_read_b128 v[4:7], v10
	v_div_fmas_f64 v[16:17], v[18:19], v[40:41], v[16:17]
	v_div_fixup_f64 v[36:37], v[16:17], v[36:37], 1.0
	ds_read_b128 v[16:19], v11
	ds_read_b128 v[28:31], v43
	s_waitcnt lgkmcnt(2)
	v_mul_f64 v[38:39], v[26:27], v[6:7]
	v_fmac_f64_e32 v[38:39], v[4:5], v[24:25]
	v_mul_f64 v[4:5], v[26:27], -v[4:5]
	v_fmac_f64_e32 v[4:5], v[6:7], v[24:25]
	ds_read_b128 v[24:27], v43 offset:2048
	v_mul_f64 v[38:39], v[36:37], v[38:39]
	v_mul_f64 v[36:37], v[36:37], v[4:5]
	v_mul_f64 v[4:5], v[32:33], -v[14:15]
	v_mul_f64 v[6:7], v[32:33], v[12:13]
	v_fmac_f64_e32 v[4:5], v[12:13], v[34:35]
	v_fmac_f64_e32 v[6:7], v[14:15], v[34:35]
	s_waitcnt lgkmcnt(2)
	v_add_f64 v[12:13], v[16:17], -v[4:5]
	v_add_f64 v[14:15], v[18:19], -v[6:7]
	ds_read_b128 v[4:7], v3 offset:2016
	s_waitcnt lgkmcnt(2)
	v_mul_f64 v[16:17], v[36:37], -v[30:31]
	v_mul_f64 v[18:19], v[36:37], v[28:29]
	v_fmac_f64_e32 v[16:17], v[28:29], v[38:39]
	v_fmac_f64_e32 v[18:19], v[30:31], v[38:39]
	v_add_f64 v[12:13], v[12:13], -v[16:17]
	v_add_f64 v[14:15], v[14:15], -v[18:19]
	ds_read_b128 v[16:19], v42
	s_waitcnt lgkmcnt(1)
	v_mul_f64 v[28:29], v[32:33], -v[6:7]
	v_fmac_f64_e32 v[28:29], v[4:5], v[34:35]
	v_mul_f64 v[4:5], v[32:33], v[4:5]
	v_fmac_f64_e32 v[4:5], v[6:7], v[34:35]
	v_add_f64 v[20:21], v[20:21], -v[28:29]
	v_add_f64 v[22:23], v[22:23], -v[4:5]
	ds_read_b128 v[4:7], v43 offset:1024
	v_mul_f64 v[28:29], v[36:37], -v[26:27]
	v_fmac_f64_e32 v[28:29], v[24:25], v[38:39]
	v_mul_f64 v[24:25], v[36:37], v[24:25]
	v_fmac_f64_e32 v[24:25], v[26:27], v[38:39]
	v_add_f64 v[22:23], v[22:23], -v[24:25]
	s_waitcnt lgkmcnt(1)
	v_mul_f64 v[24:25], v[32:33], v[18:19]
	v_fma_f64 v[24:25], -v[16:17], v[34:35], v[24:25]
	v_mul_f64 v[16:17], v[32:33], -v[16:17]
	v_fma_f64 v[26:27], -v[18:19], v[34:35], v[16:17]
	s_waitcnt lgkmcnt(0)
	v_mul_f64 v[16:17], v[36:37], v[6:7]
	v_max_u32_e32 v3, 4, v0
	v_fma_f64 v[16:17], -v[4:5], v[38:39], v[16:17]
	v_mul_f64 v[4:5], v[36:37], -v[4:5]
	v_lshlrev_b32_e32 v3, 4, v3
	v_add_f64 v[20:21], v[20:21], -v[28:29]
	v_fma_f64 v[18:19], -v[6:7], v[38:39], v[4:5]
	s_waitcnt lgkmcnt(0)
	; wave barrier
	ds_write_b128 v11, v[12:15]
	ds_write_b128 v1, v[20:23] offset:2048
	ds_write_b128 v1, v[24:27]
	ds_write_b128 v10, v[16:19]
	s_waitcnt lgkmcnt(0)
	; wave barrier
	s_waitcnt lgkmcnt(0)
	ds_read_b128 v[4:7], v3 offset:448
	v_add_u32_e32 v22, 4, v0
	v_cmp_gt_i32_e32 vcc, s8, v22
	v_cndmask_b32_e32 v26, v2, v22, vcc
	ds_read_b128 v[12:15], v3 offset:960
	s_waitcnt lgkmcnt(1)
	v_mul_f64 v[20:21], v[6:7], v[6:7]
	v_fmac_f64_e32 v[20:21], v[4:5], v[4:5]
	v_div_scale_f64 v[16:17], s[4:5], v[20:21], v[20:21], 1.0
	v_rcp_f64_e32 v[18:19], v[16:17]
	v_lshlrev_b32_e32 v43, 4, v26
	v_subrev_u32_e32 v42, 64, v3
	v_fma_f64 v[22:23], -v[16:17], v[18:19], 1.0
	v_fmac_f64_e32 v[18:19], v[18:19], v[22:23]
	v_fma_f64 v[22:23], -v[16:17], v[18:19], 1.0
	v_fmac_f64_e32 v[18:19], v[18:19], v[22:23]
	v_div_scale_f64 v[22:23], vcc, 1.0, v[20:21], 1.0
	v_mul_f64 v[24:25], v[22:23], v[18:19]
	v_fma_f64 v[16:17], -v[16:17], v[24:25], v[22:23]
	s_nop 1
	v_div_fmas_f64 v[22:23], v[16:17], v[18:19], v[24:25]
	ds_read_b128 v[16:19], v1
	v_div_fixup_f64 v[32:33], v[22:23], v[20:21], 1.0
	ds_read_b128 v[20:23], v1 offset:2048
	ds_read_b128 v[24:27], v43 offset:512
	s_waitcnt lgkmcnt(2)
	v_mul_f64 v[28:29], v[6:7], v[18:19]
	v_mul_f64 v[6:7], v[6:7], -v[16:17]
	s_waitcnt lgkmcnt(0)
	v_mul_f64 v[36:37], v[26:27], v[26:27]
	v_fmac_f64_e32 v[36:37], v[24:25], v[24:25]
	v_div_scale_f64 v[38:39], s[4:5], v[36:37], v[36:37], 1.0
	v_rcp_f64_e32 v[40:41], v[38:39]
	v_fmac_f64_e32 v[28:29], v[16:17], v[4:5]
	v_fmac_f64_e32 v[6:7], v[18:19], v[4:5]
	v_mul_f64 v[34:35], v[32:33], v[28:29]
	v_fma_f64 v[4:5], -v[38:39], v[40:41], 1.0
	v_fmac_f64_e32 v[40:41], v[40:41], v[4:5]
	v_fma_f64 v[4:5], -v[38:39], v[40:41], 1.0
	v_fmac_f64_e32 v[40:41], v[40:41], v[4:5]
	v_div_scale_f64 v[4:5], vcc, 1.0, v[36:37], 1.0
	v_mul_f64 v[16:17], v[4:5], v[40:41]
	v_mul_f64 v[32:33], v[32:33], v[6:7]
	v_fma_f64 v[18:19], -v[38:39], v[16:17], v[4:5]
	ds_read_b128 v[4:7], v10
	v_div_fmas_f64 v[16:17], v[18:19], v[40:41], v[16:17]
	v_div_fixup_f64 v[36:37], v[16:17], v[36:37], 1.0
	ds_read_b128 v[16:19], v11
	ds_read_b128 v[28:31], v43
	s_waitcnt lgkmcnt(2)
	v_mul_f64 v[38:39], v[26:27], v[6:7]
	v_fmac_f64_e32 v[38:39], v[4:5], v[24:25]
	v_mul_f64 v[4:5], v[26:27], -v[4:5]
	v_fmac_f64_e32 v[4:5], v[6:7], v[24:25]
	ds_read_b128 v[24:27], v43 offset:2048
	v_mul_f64 v[38:39], v[36:37], v[38:39]
	v_mul_f64 v[36:37], v[36:37], v[4:5]
	v_mul_f64 v[4:5], v[32:33], -v[14:15]
	v_mul_f64 v[6:7], v[32:33], v[12:13]
	v_fmac_f64_e32 v[4:5], v[12:13], v[34:35]
	v_fmac_f64_e32 v[6:7], v[14:15], v[34:35]
	s_waitcnt lgkmcnt(2)
	v_add_f64 v[12:13], v[16:17], -v[4:5]
	v_add_f64 v[14:15], v[18:19], -v[6:7]
	ds_read_b128 v[4:7], v3 offset:1984
	s_waitcnt lgkmcnt(2)
	v_mul_f64 v[16:17], v[36:37], -v[30:31]
	v_mul_f64 v[18:19], v[36:37], v[28:29]
	v_fmac_f64_e32 v[16:17], v[28:29], v[38:39]
	v_fmac_f64_e32 v[18:19], v[30:31], v[38:39]
	v_add_f64 v[12:13], v[12:13], -v[16:17]
	v_add_f64 v[14:15], v[14:15], -v[18:19]
	ds_read_b128 v[16:19], v42
	s_waitcnt lgkmcnt(1)
	v_mul_f64 v[28:29], v[32:33], -v[6:7]
	v_fmac_f64_e32 v[28:29], v[4:5], v[34:35]
	v_mul_f64 v[4:5], v[32:33], v[4:5]
	v_fmac_f64_e32 v[4:5], v[6:7], v[34:35]
	v_add_f64 v[20:21], v[20:21], -v[28:29]
	v_add_f64 v[22:23], v[22:23], -v[4:5]
	ds_read_b128 v[4:7], v43 offset:1024
	v_mul_f64 v[28:29], v[36:37], -v[26:27]
	v_fmac_f64_e32 v[28:29], v[24:25], v[38:39]
	v_mul_f64 v[24:25], v[36:37], v[24:25]
	v_fmac_f64_e32 v[24:25], v[26:27], v[38:39]
	v_add_f64 v[22:23], v[22:23], -v[24:25]
	s_waitcnt lgkmcnt(1)
	v_mul_f64 v[24:25], v[32:33], v[18:19]
	v_fma_f64 v[24:25], -v[16:17], v[34:35], v[24:25]
	v_mul_f64 v[16:17], v[32:33], -v[16:17]
	v_fma_f64 v[26:27], -v[18:19], v[34:35], v[16:17]
	s_waitcnt lgkmcnt(0)
	v_mul_f64 v[16:17], v[36:37], v[6:7]
	v_max_u32_e32 v3, 8, v0
	v_fma_f64 v[16:17], -v[4:5], v[38:39], v[16:17]
	v_mul_f64 v[4:5], v[36:37], -v[4:5]
	v_lshlrev_b32_e32 v40, 4, v3
	v_add_f64 v[20:21], v[20:21], -v[28:29]
	v_fma_f64 v[18:19], -v[6:7], v[38:39], v[4:5]
	s_waitcnt lgkmcnt(0)
	; wave barrier
	ds_write_b128 v11, v[12:15]
	ds_write_b128 v1, v[20:23] offset:2048
	ds_write_b128 v1, v[24:27]
	ds_write_b128 v10, v[16:19]
	s_waitcnt lgkmcnt(0)
	; wave barrier
	s_waitcnt lgkmcnt(0)
	ds_read_b128 v[4:7], v40 offset:384
	v_add_u32_e32 v3, 8, v0
	v_cmp_gt_i32_e32 vcc, s8, v3
	v_cndmask_b32_e32 v24, v2, v3, vcc
	ds_read_b128 v[12:15], v40 offset:896
	s_waitcnt lgkmcnt(1)
	v_mul_f64 v[20:21], v[6:7], v[6:7]
	v_fmac_f64_e32 v[20:21], v[4:5], v[4:5]
	v_div_scale_f64 v[16:17], s[4:5], v[20:21], v[20:21], 1.0
	v_rcp_f64_e32 v[18:19], v[16:17]
	v_lshlrev_b32_e32 v42, 4, v24
	v_add_u32_e32 v41, 0xffffff80, v40
	v_fma_f64 v[2:3], -v[16:17], v[18:19], 1.0
	v_fmac_f64_e32 v[18:19], v[18:19], v[2:3]
	v_fma_f64 v[2:3], -v[16:17], v[18:19], 1.0
	v_fmac_f64_e32 v[18:19], v[18:19], v[2:3]
	v_div_scale_f64 v[2:3], vcc, 1.0, v[20:21], 1.0
	v_mul_f64 v[22:23], v[2:3], v[18:19]
	v_fma_f64 v[2:3], -v[16:17], v[22:23], v[2:3]
	s_nop 1
	v_div_fmas_f64 v[2:3], v[2:3], v[18:19], v[22:23]
	ds_read_b128 v[16:19], v1
	v_div_fixup_f64 v[2:3], v[2:3], v[20:21], 1.0
	ds_read_b128 v[20:23], v1 offset:2048
	ds_read_b128 v[24:27], v42 offset:512
	s_waitcnt lgkmcnt(2)
	v_mul_f64 v[28:29], v[6:7], v[18:19]
	v_mul_f64 v[6:7], v[6:7], -v[16:17]
	s_waitcnt lgkmcnt(0)
	v_mul_f64 v[34:35], v[26:27], v[26:27]
	v_fmac_f64_e32 v[34:35], v[24:25], v[24:25]
	v_div_scale_f64 v[36:37], s[4:5], v[34:35], v[34:35], 1.0
	v_rcp_f64_e32 v[38:39], v[36:37]
	v_fmac_f64_e32 v[28:29], v[16:17], v[4:5]
	v_fmac_f64_e32 v[6:7], v[18:19], v[4:5]
	v_mul_f64 v[32:33], v[2:3], v[28:29]
	v_mul_f64 v[6:7], v[2:3], v[6:7]
	v_fma_f64 v[2:3], -v[36:37], v[38:39], 1.0
	v_fmac_f64_e32 v[38:39], v[38:39], v[2:3]
	v_fma_f64 v[2:3], -v[36:37], v[38:39], 1.0
	v_fmac_f64_e32 v[38:39], v[38:39], v[2:3]
	v_div_scale_f64 v[2:3], vcc, 1.0, v[34:35], 1.0
	v_mul_f64 v[16:17], v[2:3], v[38:39]
	v_fma_f64 v[18:19], -v[36:37], v[16:17], v[2:3]
	ds_read_b128 v[2:5], v10
	s_nop 0
	v_div_fmas_f64 v[16:17], v[18:19], v[38:39], v[16:17]
	v_div_fixup_f64 v[34:35], v[16:17], v[34:35], 1.0
	ds_read_b128 v[16:19], v11
	ds_read_b128 v[28:31], v42
	s_waitcnt lgkmcnt(2)
	v_mul_f64 v[36:37], v[26:27], v[4:5]
	v_fmac_f64_e32 v[36:37], v[2:3], v[24:25]
	v_mul_f64 v[2:3], v[26:27], -v[2:3]
	v_fmac_f64_e32 v[2:3], v[4:5], v[24:25]
	ds_read_b128 v[24:27], v42 offset:2048
	v_mul_f64 v[36:37], v[34:35], v[36:37]
	v_mul_f64 v[34:35], v[34:35], v[2:3]
	v_mul_f64 v[2:3], v[6:7], -v[14:15]
	v_mul_f64 v[4:5], v[6:7], v[12:13]
	v_fmac_f64_e32 v[2:3], v[12:13], v[32:33]
	v_fmac_f64_e32 v[4:5], v[14:15], v[32:33]
	s_waitcnt lgkmcnt(2)
	v_add_f64 v[12:13], v[16:17], -v[2:3]
	v_add_f64 v[14:15], v[18:19], -v[4:5]
	ds_read_b128 v[2:5], v40 offset:1920
	s_waitcnt lgkmcnt(2)
	v_mul_f64 v[16:17], v[34:35], -v[30:31]
	v_mul_f64 v[18:19], v[34:35], v[28:29]
	v_fmac_f64_e32 v[16:17], v[28:29], v[36:37]
	v_fmac_f64_e32 v[18:19], v[30:31], v[36:37]
	v_add_f64 v[12:13], v[12:13], -v[16:17]
	v_add_f64 v[14:15], v[14:15], -v[18:19]
	ds_read_b128 v[16:19], v41
	s_waitcnt lgkmcnt(1)
	v_mul_f64 v[28:29], v[6:7], -v[4:5]
	v_fmac_f64_e32 v[28:29], v[2:3], v[32:33]
	v_mul_f64 v[2:3], v[6:7], v[2:3]
	v_fmac_f64_e32 v[2:3], v[4:5], v[32:33]
	v_add_f64 v[22:23], v[22:23], -v[2:3]
	ds_read_b128 v[2:5], v42 offset:1024
	v_add_f64 v[20:21], v[20:21], -v[28:29]
	v_mul_f64 v[28:29], v[34:35], -v[26:27]
	v_fmac_f64_e32 v[28:29], v[24:25], v[36:37]
	v_mul_f64 v[24:25], v[34:35], v[24:25]
	v_fmac_f64_e32 v[24:25], v[26:27], v[36:37]
	v_add_f64 v[22:23], v[22:23], -v[24:25]
	s_waitcnt lgkmcnt(1)
	v_mul_f64 v[24:25], v[6:7], v[18:19]
	v_mul_f64 v[6:7], v[6:7], -v[16:17]
	v_fma_f64 v[26:27], -v[18:19], v[32:33], v[6:7]
	s_waitcnt lgkmcnt(0)
	v_mul_f64 v[6:7], v[34:35], v[4:5]
	v_fma_f64 v[24:25], -v[16:17], v[32:33], v[24:25]
	v_fma_f64 v[16:17], -v[2:3], v[36:37], v[6:7]
	v_mul_f64 v[2:3], v[34:35], -v[2:3]
	v_cmp_gt_u32_e32 vcc, 16, v0
	v_add_f64 v[20:21], v[20:21], -v[28:29]
	v_fma_f64 v[18:19], -v[4:5], v[36:37], v[2:3]
	s_waitcnt lgkmcnt(0)
	; wave barrier
	ds_write_b128 v11, v[12:15]
	ds_write_b128 v1, v[20:23] offset:2048
	ds_write_b128 v1, v[24:27]
	ds_write_b128 v10, v[16:19]
	s_waitcnt lgkmcnt(0)
	; wave barrier
	s_waitcnt lgkmcnt(0)
	s_and_saveexec_b64 s[4:5], vcc
	s_cbranch_execz .LBB75_14
; %bb.9:
	v_or_b32_e32 v6, 16, v0
	v_or_b32_e32 v7, 0x800, v1
	v_cmp_le_i32_e32 vcc, s8, v6
                                        ; implicit-def: $vgpr4_vgpr5
	s_and_saveexec_b64 s[6:7], vcc
	s_xor_b64 s[6:7], exec, s[6:7]
	s_cbranch_execz .LBB75_11
; %bb.10:
	ds_read_b128 v[10:13], v11
	ds_read_b128 v[4:7], v7
	s_waitcnt lgkmcnt(1)
	v_mul_f64 v[2:3], v[12:13], v[12:13]
	v_fmac_f64_e32 v[2:3], v[10:11], v[10:11]
	v_div_scale_f64 v[16:17], s[8:9], v[2:3], v[2:3], 1.0
	v_rcp_f64_e32 v[18:19], v[16:17]
	v_div_scale_f64 v[20:21], vcc, 1.0, v[2:3], 1.0
	s_waitcnt lgkmcnt(0)
	v_mul_f64 v[14:15], v[12:13], v[6:7]
	v_fma_f64 v[22:23], -v[16:17], v[18:19], 1.0
	v_fmac_f64_e32 v[18:19], v[18:19], v[22:23]
	v_fma_f64 v[22:23], -v[16:17], v[18:19], 1.0
	v_fmac_f64_e32 v[18:19], v[18:19], v[22:23]
	v_mul_f64 v[22:23], v[20:21], v[18:19]
	v_fma_f64 v[16:17], -v[16:17], v[22:23], v[20:21]
	v_fmac_f64_e32 v[14:15], v[4:5], v[10:11]
	v_div_fmas_f64 v[16:17], v[16:17], v[18:19], v[22:23]
	v_mul_f64 v[4:5], v[12:13], -v[4:5]
	v_div_fixup_f64 v[16:17], v[16:17], v[2:3], 1.0
	v_fmac_f64_e32 v[4:5], v[6:7], v[10:11]
	v_mul_f64 v[2:3], v[16:17], v[14:15]
	v_mul_f64 v[4:5], v[16:17], v[4:5]
                                        ; implicit-def: $vgpr11
                                        ; implicit-def: $vgpr10
                                        ; implicit-def: $vgpr7
                                        ; implicit-def: $vgpr6
.LBB75_11:
	s_andn2_saveexec_b64 s[6:7], s[6:7]
	s_cbranch_execz .LBB75_13
; %bb.12:
	ds_read_b128 v[2:5], v11 offset:256
	ds_read_b128 v[12:15], v11
	ds_read_b128 v[16:19], v1 offset:256
	ds_read_b128 v[20:23], v10
	v_mov_b32_e32 v0, v6
	s_waitcnt lgkmcnt(2)
	v_mul_f64 v[24:25], v[14:15], v[2:3]
	v_mul_f64 v[10:11], v[14:15], -v[4:5]
	s_waitcnt lgkmcnt(0)
	v_mul_f64 v[28:29], v[18:19], v[20:21]
	v_fmac_f64_e32 v[24:25], v[4:5], v[12:13]
	v_mul_f64 v[26:27], v[18:19], -v[22:23]
	v_fmac_f64_e32 v[28:29], v[22:23], v[16:17]
	v_fmac_f64_e32 v[10:11], v[2:3], v[12:13]
	v_fmac_f64_e32 v[26:27], v[20:21], v[16:17]
	v_add_f64 v[28:29], v[24:25], -v[28:29]
	v_add_f64 v[10:11], v[10:11], -v[26:27]
	v_mul_f64 v[24:25], v[28:29], v[28:29]
	v_fmac_f64_e32 v[24:25], v[10:11], v[10:11]
	v_div_scale_f64 v[26:27], s[8:9], v[24:25], v[24:25], 1.0
	v_rcp_f64_e32 v[30:31], v[26:27]
	v_fma_f64 v[32:33], -v[26:27], v[30:31], 1.0
	v_fmac_f64_e32 v[30:31], v[30:31], v[32:33]
	v_fma_f64 v[32:33], -v[26:27], v[30:31], 1.0
	v_fmac_f64_e32 v[30:31], v[30:31], v[32:33]
	v_div_scale_f64 v[32:33], vcc, 1.0, v[24:25], 1.0
	v_mul_f64 v[34:35], v[32:33], v[30:31]
	v_fma_f64 v[26:27], -v[26:27], v[34:35], v[32:33]
	v_fma_f64 v[32:33], 0, v[28:29], v[10:11]
	s_nop 0
	v_div_fmas_f64 v[26:27], v[26:27], v[30:31], v[34:35]
	v_div_fixup_f64 v[30:31], v[26:27], v[24:25], 1.0
	ds_read_b128 v[24:27], v7
	v_fma_f64 v[10:11], v[10:11], 0, -v[28:29]
	v_mul_f64 v[32:33], v[32:33], v[30:31]
	v_mul_f64 v[10:11], v[10:11], v[30:31]
	ds_read_b128 v[28:31], v7 offset:256
	s_waitcnt lgkmcnt(1)
	v_mul_f64 v[34:35], v[26:27], -v[4:5]
	v_fmac_f64_e32 v[34:35], v[2:3], v[24:25]
	v_mul_f64 v[2:3], v[2:3], v[26:27]
	v_fmac_f64_e32 v[2:3], v[4:5], v[24:25]
	s_waitcnt lgkmcnt(0)
	v_mul_f64 v[4:5], v[30:31], -v[22:23]
	v_fmac_f64_e32 v[4:5], v[20:21], v[28:29]
	v_mul_f64 v[20:21], v[20:21], v[30:31]
	v_fmac_f64_e32 v[20:21], v[22:23], v[28:29]
	v_add_f64 v[20:21], v[2:3], -v[20:21]
	v_add_f64 v[4:5], v[34:35], -v[4:5]
	v_mul_f64 v[2:3], v[10:11], -v[20:21]
	v_fmac_f64_e32 v[2:3], v[4:5], v[32:33]
	v_mul_f64 v[4:5], v[10:11], v[4:5]
	v_fmac_f64_e32 v[4:5], v[20:21], v[32:33]
	ds_write_b128 v1, v[2:5] offset:1536
	v_mul_f64 v[2:3], v[14:15], -v[30:31]
	v_mul_f64 v[4:5], v[14:15], v[28:29]
	v_fmac_f64_e32 v[2:3], v[28:29], v[12:13]
	v_fmac_f64_e32 v[4:5], v[30:31], v[12:13]
	v_mul_f64 v[12:13], v[18:19], -v[26:27]
	v_mul_f64 v[14:15], v[18:19], v[24:25]
	v_fmac_f64_e32 v[12:13], v[24:25], v[16:17]
	v_fmac_f64_e32 v[14:15], v[26:27], v[16:17]
	v_add_f64 v[12:13], v[2:3], -v[12:13]
	v_add_f64 v[14:15], v[4:5], -v[14:15]
	v_mul_f64 v[2:3], v[10:11], -v[14:15]
	v_mul_f64 v[4:5], v[10:11], v[12:13]
	v_fmac_f64_e32 v[2:3], v[12:13], v[32:33]
	v_fmac_f64_e32 v[4:5], v[14:15], v[32:33]
.LBB75_13:
	s_or_b64 exec, exec, s[6:7]
	v_lshlrev_b32_e32 v0, 4, v0
	ds_write_b128 v0, v[2:5] offset:1536
.LBB75_14:
	s_or_b64 exec, exec, s[4:5]
	s_waitcnt lgkmcnt(0)
	; wave barrier
	s_waitcnt lgkmcnt(0)
	s_and_saveexec_b64 s[4:5], s[0:1]
	s_cbranch_execz .LBB75_16
; %bb.15:
	ds_read2_b64 v[0:3], v1 offset0:192 offset1:193
	v_lshlrev_b64 v[4:5], 4, v[8:9]
	v_mov_b32_e32 v6, s3
	v_add_co_u32_e32 v4, vcc, s2, v4
	v_addc_co_u32_e32 v5, vcc, v6, v5, vcc
	s_waitcnt lgkmcnt(0)
	global_store_dwordx4 v[4:5], v[0:3], off
.LBB75_16:
	s_endpgm
	.section	.rodata,"a",@progbits
	.p2align	6, 0x0
	.amdhsa_kernel _ZN9rocsparseL44gtsv_nopivot_strided_batch_pcr_shared_kernelILj32E21rocsparse_complex_numIdEEEviiiPKT0_S5_S5_PS3_
		.amdhsa_group_segment_fixed_size 2560
		.amdhsa_private_segment_fixed_size 0
		.amdhsa_kernarg_size 48
		.amdhsa_user_sgpr_count 6
		.amdhsa_user_sgpr_private_segment_buffer 1
		.amdhsa_user_sgpr_dispatch_ptr 0
		.amdhsa_user_sgpr_queue_ptr 0
		.amdhsa_user_sgpr_kernarg_segment_ptr 1
		.amdhsa_user_sgpr_dispatch_id 0
		.amdhsa_user_sgpr_flat_scratch_init 0
		.amdhsa_user_sgpr_kernarg_preload_length 0
		.amdhsa_user_sgpr_kernarg_preload_offset 0
		.amdhsa_user_sgpr_private_segment_size 0
		.amdhsa_uses_dynamic_stack 0
		.amdhsa_system_sgpr_private_segment_wavefront_offset 0
		.amdhsa_system_sgpr_workgroup_id_x 1
		.amdhsa_system_sgpr_workgroup_id_y 0
		.amdhsa_system_sgpr_workgroup_id_z 0
		.amdhsa_system_sgpr_workgroup_info 0
		.amdhsa_system_vgpr_workitem_id 0
		.amdhsa_next_free_vgpr 44
		.amdhsa_next_free_sgpr 10
		.amdhsa_accum_offset 44
		.amdhsa_reserve_vcc 1
		.amdhsa_reserve_flat_scratch 0
		.amdhsa_float_round_mode_32 0
		.amdhsa_float_round_mode_16_64 0
		.amdhsa_float_denorm_mode_32 3
		.amdhsa_float_denorm_mode_16_64 3
		.amdhsa_dx10_clamp 1
		.amdhsa_ieee_mode 1
		.amdhsa_fp16_overflow 0
		.amdhsa_tg_split 0
		.amdhsa_exception_fp_ieee_invalid_op 0
		.amdhsa_exception_fp_denorm_src 0
		.amdhsa_exception_fp_ieee_div_zero 0
		.amdhsa_exception_fp_ieee_overflow 0
		.amdhsa_exception_fp_ieee_underflow 0
		.amdhsa_exception_fp_ieee_inexact 0
		.amdhsa_exception_int_div_zero 0
	.end_amdhsa_kernel
	.section	.text._ZN9rocsparseL44gtsv_nopivot_strided_batch_pcr_shared_kernelILj32E21rocsparse_complex_numIdEEEviiiPKT0_S5_S5_PS3_,"axG",@progbits,_ZN9rocsparseL44gtsv_nopivot_strided_batch_pcr_shared_kernelILj32E21rocsparse_complex_numIdEEEviiiPKT0_S5_S5_PS3_,comdat
.Lfunc_end75:
	.size	_ZN9rocsparseL44gtsv_nopivot_strided_batch_pcr_shared_kernelILj32E21rocsparse_complex_numIdEEEviiiPKT0_S5_S5_PS3_, .Lfunc_end75-_ZN9rocsparseL44gtsv_nopivot_strided_batch_pcr_shared_kernelILj32E21rocsparse_complex_numIdEEEviiiPKT0_S5_S5_PS3_
                                        ; -- End function
	.section	.AMDGPU.csdata,"",@progbits
; Kernel info:
; codeLenInByte = 3876
; NumSgprs: 14
; NumVgprs: 44
; NumAgprs: 0
; TotalNumVgprs: 44
; ScratchSize: 0
; MemoryBound: 1
; FloatMode: 240
; IeeeMode: 1
; LDSByteSize: 2560 bytes/workgroup (compile time only)
; SGPRBlocks: 1
; VGPRBlocks: 5
; NumSGPRsForWavesPerEU: 14
; NumVGPRsForWavesPerEU: 44
; AccumOffset: 44
; Occupancy: 7
; WaveLimiterHint : 0
; COMPUTE_PGM_RSRC2:SCRATCH_EN: 0
; COMPUTE_PGM_RSRC2:USER_SGPR: 6
; COMPUTE_PGM_RSRC2:TRAP_HANDLER: 0
; COMPUTE_PGM_RSRC2:TGID_X_EN: 1
; COMPUTE_PGM_RSRC2:TGID_Y_EN: 0
; COMPUTE_PGM_RSRC2:TGID_Z_EN: 0
; COMPUTE_PGM_RSRC2:TIDIG_COMP_CNT: 0
; COMPUTE_PGM_RSRC3_GFX90A:ACCUM_OFFSET: 10
; COMPUTE_PGM_RSRC3_GFX90A:TG_SPLIT: 0
	.section	.text._ZN9rocsparseL44gtsv_nopivot_strided_batch_pcr_shared_kernelILj64E21rocsparse_complex_numIdEEEviiiPKT0_S5_S5_PS3_,"axG",@progbits,_ZN9rocsparseL44gtsv_nopivot_strided_batch_pcr_shared_kernelILj64E21rocsparse_complex_numIdEEEviiiPKT0_S5_S5_PS3_,comdat
	.globl	_ZN9rocsparseL44gtsv_nopivot_strided_batch_pcr_shared_kernelILj64E21rocsparse_complex_numIdEEEviiiPKT0_S5_S5_PS3_ ; -- Begin function _ZN9rocsparseL44gtsv_nopivot_strided_batch_pcr_shared_kernelILj64E21rocsparse_complex_numIdEEEviiiPKT0_S5_S5_PS3_
	.p2align	8
	.type	_ZN9rocsparseL44gtsv_nopivot_strided_batch_pcr_shared_kernelILj64E21rocsparse_complex_numIdEEEviiiPKT0_S5_S5_PS3_,@function
_ZN9rocsparseL44gtsv_nopivot_strided_batch_pcr_shared_kernelILj64E21rocsparse_complex_numIdEEEviiiPKT0_S5_S5_PS3_: ; @_ZN9rocsparseL44gtsv_nopivot_strided_batch_pcr_shared_kernelILj64E21rocsparse_complex_numIdEEEviiiPKT0_S5_S5_PS3_
; %bb.0:
	s_load_dword s0, s[4:5], 0x8
	s_load_dword s8, s[4:5], 0x0
	v_pk_mov_b32 v[2:3], 0, 0
	v_pk_mov_b32 v[4:5], v[2:3], v[2:3] op_sel:[0,1]
	v_pk_mov_b32 v[6:7], v[2:3], v[2:3] op_sel:[0,1]
	s_waitcnt lgkmcnt(0)
	s_mul_i32 s6, s6, s0
	v_add_u32_e32 v8, s6, v0
	v_cmp_gt_i32_e64 s[0:1], s8, v0
	v_ashrrev_i32_e32 v9, 31, v8
	s_and_saveexec_b64 s[2:3], s[0:1]
	s_cbranch_execz .LBB76_2
; %bb.1:
	s_load_dwordx2 s[6:7], s[4:5], 0x10
	v_lshlrev_b64 v[4:5], 4, v[8:9]
	s_waitcnt lgkmcnt(0)
	v_mov_b32_e32 v1, s7
	v_add_co_u32_e32 v4, vcc, s6, v4
	v_addc_co_u32_e32 v5, vcc, v1, v5, vcc
	global_load_dwordx4 v[4:7], v[4:5], off
.LBB76_2:
	s_or_b64 exec, exec, s[2:3]
	v_lshlrev_b32_e32 v1, 4, v0
	s_waitcnt vmcnt(0)
	ds_write_b128 v1, v[4:7]
	v_pk_mov_b32 v[4:5], v[2:3], v[2:3] op_sel:[0,1]
	s_and_saveexec_b64 s[2:3], s[0:1]
	s_cbranch_execz .LBB76_4
; %bb.3:
	s_load_dwordx2 s[6:7], s[4:5], 0x18
	v_lshlrev_b64 v[2:3], 4, v[8:9]
	s_waitcnt lgkmcnt(0)
	v_mov_b32_e32 v4, s7
	v_add_co_u32_e32 v2, vcc, s6, v2
	v_addc_co_u32_e32 v3, vcc, v4, v3, vcc
	global_load_dwordx4 v[2:5], v[2:3], off
.LBB76_4:
	s_or_b64 exec, exec, s[2:3]
	s_load_dwordx2 s[2:3], s[4:5], 0x28
	s_waitcnt vmcnt(0)
	ds_write_b128 v1, v[2:5] offset:1024
	v_pk_mov_b32 v[2:3], 0, 0
	v_pk_mov_b32 v[4:5], v[2:3], v[2:3] op_sel:[0,1]
	v_pk_mov_b32 v[6:7], v[2:3], v[2:3] op_sel:[0,1]
	s_and_saveexec_b64 s[6:7], s[0:1]
	s_cbranch_execz .LBB76_6
; %bb.5:
	s_load_dwordx2 s[4:5], s[4:5], 0x20
	v_lshlrev_b64 v[4:5], 4, v[8:9]
	s_waitcnt lgkmcnt(0)
	v_mov_b32_e32 v6, s5
	v_add_co_u32_e32 v4, vcc, s4, v4
	v_addc_co_u32_e32 v5, vcc, v6, v5, vcc
	global_load_dwordx4 v[4:7], v[4:5], off
.LBB76_6:
	s_or_b64 exec, exec, s[6:7]
	v_or_b32_e32 v11, 0x400, v1
	v_or_b32_e32 v10, 0x800, v1
	s_waitcnt vmcnt(0)
	ds_write_b128 v1, v[4:7] offset:2048
	v_pk_mov_b32 v[4:5], v[2:3], v[2:3] op_sel:[0,1]
	s_and_saveexec_b64 s[4:5], s[0:1]
	s_cbranch_execz .LBB76_8
; %bb.7:
	v_lshlrev_b64 v[2:3], 4, v[8:9]
	s_waitcnt lgkmcnt(0)
	v_mov_b32_e32 v4, s3
	v_add_co_u32_e32 v2, vcc, s2, v2
	v_addc_co_u32_e32 v3, vcc, v4, v3, vcc
	global_load_dwordx4 v[2:5], v[2:3], off
.LBB76_8:
	s_or_b64 exec, exec, s[4:5]
	s_waitcnt vmcnt(0)
	ds_write_b128 v1, v[2:5] offset:4096
	v_max_u32_e32 v2, 1, v0
	v_lshlrev_b32_e32 v3, 4, v2
	s_waitcnt lgkmcnt(0)
	; wave barrier
	s_waitcnt lgkmcnt(0)
	ds_read_b128 v[4:7], v3 offset:1008
	s_add_i32 s4, s8, -1
	v_mov_b32_e32 v2, s4
	v_add_u32_e32 v22, 1, v0
	v_cmp_gt_i32_e32 vcc, s8, v22
	s_waitcnt lgkmcnt(0)
	v_mul_f64 v[20:21], v[6:7], v[6:7]
	v_fmac_f64_e32 v[20:21], v[4:5], v[4:5]
	v_div_scale_f64 v[16:17], s[4:5], v[20:21], v[20:21], 1.0
	v_rcp_f64_e32 v[18:19], v[16:17]
	v_cndmask_b32_e32 v26, v2, v22, vcc
	ds_read_b128 v[12:15], v3 offset:2032
	v_lshlrev_b32_e32 v43, 4, v26
	v_fma_f64 v[22:23], -v[16:17], v[18:19], 1.0
	v_fmac_f64_e32 v[18:19], v[18:19], v[22:23]
	v_fma_f64 v[22:23], -v[16:17], v[18:19], 1.0
	v_fmac_f64_e32 v[18:19], v[18:19], v[22:23]
	v_div_scale_f64 v[22:23], vcc, 1.0, v[20:21], 1.0
	v_mul_f64 v[24:25], v[22:23], v[18:19]
	v_fma_f64 v[16:17], -v[16:17], v[24:25], v[22:23]
	v_add_u32_e32 v42, -16, v3
	s_nop 0
	v_div_fmas_f64 v[22:23], v[16:17], v[18:19], v[24:25]
	ds_read_b128 v[16:19], v1
	v_div_fixup_f64 v[32:33], v[22:23], v[20:21], 1.0
	ds_read_b128 v[20:23], v11
	ds_read_b128 v[24:27], v43 offset:1024
	s_waitcnt lgkmcnt(2)
	v_mul_f64 v[28:29], v[6:7], v[18:19]
	v_mul_f64 v[6:7], v[6:7], -v[16:17]
	s_waitcnt lgkmcnt(0)
	v_mul_f64 v[36:37], v[26:27], v[26:27]
	v_fmac_f64_e32 v[36:37], v[24:25], v[24:25]
	v_div_scale_f64 v[38:39], s[4:5], v[36:37], v[36:37], 1.0
	v_rcp_f64_e32 v[40:41], v[38:39]
	v_fmac_f64_e32 v[28:29], v[16:17], v[4:5]
	v_fmac_f64_e32 v[6:7], v[18:19], v[4:5]
	v_mul_f64 v[34:35], v[32:33], v[28:29]
	v_fma_f64 v[4:5], -v[38:39], v[40:41], 1.0
	v_fmac_f64_e32 v[40:41], v[40:41], v[4:5]
	v_fma_f64 v[4:5], -v[38:39], v[40:41], 1.0
	v_fmac_f64_e32 v[40:41], v[40:41], v[4:5]
	v_div_scale_f64 v[4:5], vcc, 1.0, v[36:37], 1.0
	v_mul_f64 v[16:17], v[4:5], v[40:41]
	ds_read_b128 v[28:31], v43
	v_mul_f64 v[32:33], v[32:33], v[6:7]
	v_fma_f64 v[18:19], -v[38:39], v[16:17], v[4:5]
	ds_read_b128 v[4:7], v10
	v_div_fmas_f64 v[16:17], v[18:19], v[40:41], v[16:17]
	v_div_fixup_f64 v[36:37], v[16:17], v[36:37], 1.0
	ds_read_b128 v[16:19], v1 offset:4096
	s_waitcnt lgkmcnt(1)
	v_mul_f64 v[38:39], v[26:27], v[6:7]
	v_fmac_f64_e32 v[38:39], v[4:5], v[24:25]
	v_mul_f64 v[4:5], v[26:27], -v[4:5]
	v_fmac_f64_e32 v[4:5], v[6:7], v[24:25]
	v_mul_f64 v[38:39], v[36:37], v[38:39]
	v_mul_f64 v[36:37], v[36:37], v[4:5]
	v_mul_f64 v[4:5], v[32:33], -v[14:15]
	v_mul_f64 v[6:7], v[32:33], v[12:13]
	v_fmac_f64_e32 v[4:5], v[12:13], v[34:35]
	v_fmac_f64_e32 v[6:7], v[14:15], v[34:35]
	v_add_f64 v[12:13], v[20:21], -v[4:5]
	v_add_f64 v[14:15], v[22:23], -v[6:7]
	ds_read_b128 v[4:7], v3 offset:4080
	ds_read_b128 v[24:27], v43 offset:4096
	v_mul_f64 v[20:21], v[36:37], -v[30:31]
	v_mul_f64 v[22:23], v[36:37], v[28:29]
	v_fmac_f64_e32 v[20:21], v[28:29], v[38:39]
	v_fmac_f64_e32 v[22:23], v[30:31], v[38:39]
	s_waitcnt lgkmcnt(1)
	v_mul_f64 v[28:29], v[32:33], -v[6:7]
	v_add_f64 v[12:13], v[12:13], -v[20:21]
	v_add_f64 v[14:15], v[14:15], -v[22:23]
	ds_read_b128 v[20:23], v42
	v_fmac_f64_e32 v[28:29], v[4:5], v[34:35]
	v_mul_f64 v[4:5], v[32:33], v[4:5]
	v_fmac_f64_e32 v[4:5], v[6:7], v[34:35]
	v_add_f64 v[16:17], v[16:17], -v[28:29]
	v_add_f64 v[18:19], v[18:19], -v[4:5]
	ds_read_b128 v[4:7], v43 offset:2048
	s_waitcnt lgkmcnt(2)
	v_mul_f64 v[28:29], v[36:37], -v[26:27]
	v_fmac_f64_e32 v[28:29], v[24:25], v[38:39]
	v_mul_f64 v[24:25], v[36:37], v[24:25]
	v_fmac_f64_e32 v[24:25], v[26:27], v[38:39]
	v_add_f64 v[18:19], v[18:19], -v[24:25]
	s_waitcnt lgkmcnt(1)
	v_mul_f64 v[24:25], v[32:33], v[22:23]
	v_fma_f64 v[24:25], -v[20:21], v[34:35], v[24:25]
	v_mul_f64 v[20:21], v[32:33], -v[20:21]
	v_fma_f64 v[26:27], -v[22:23], v[34:35], v[20:21]
	s_waitcnt lgkmcnt(0)
	v_mul_f64 v[20:21], v[36:37], v[6:7]
	v_max_u32_e32 v3, 2, v0
	v_fma_f64 v[20:21], -v[4:5], v[38:39], v[20:21]
	v_mul_f64 v[4:5], v[36:37], -v[4:5]
	v_lshlrev_b32_e32 v3, 4, v3
	v_add_f64 v[16:17], v[16:17], -v[28:29]
	v_fma_f64 v[22:23], -v[6:7], v[38:39], v[4:5]
	s_waitcnt lgkmcnt(0)
	; wave barrier
	ds_write_b128 v11, v[12:15]
	ds_write_b128 v1, v[16:19] offset:4096
	ds_write_b128 v1, v[24:27]
	ds_write_b128 v10, v[20:23]
	s_waitcnt lgkmcnt(0)
	; wave barrier
	s_waitcnt lgkmcnt(0)
	ds_read_b128 v[4:7], v3 offset:992
	v_add_u32_e32 v22, 2, v0
	v_cmp_gt_i32_e32 vcc, s8, v22
	v_cndmask_b32_e32 v26, v2, v22, vcc
	ds_read_b128 v[12:15], v3 offset:2016
	s_waitcnt lgkmcnt(1)
	v_mul_f64 v[20:21], v[6:7], v[6:7]
	v_fmac_f64_e32 v[20:21], v[4:5], v[4:5]
	v_div_scale_f64 v[16:17], s[4:5], v[20:21], v[20:21], 1.0
	v_rcp_f64_e32 v[18:19], v[16:17]
	v_lshlrev_b32_e32 v43, 4, v26
	v_subrev_u32_e32 v42, 32, v3
	v_fma_f64 v[22:23], -v[16:17], v[18:19], 1.0
	v_fmac_f64_e32 v[18:19], v[18:19], v[22:23]
	v_fma_f64 v[22:23], -v[16:17], v[18:19], 1.0
	v_fmac_f64_e32 v[18:19], v[18:19], v[22:23]
	v_div_scale_f64 v[22:23], vcc, 1.0, v[20:21], 1.0
	v_mul_f64 v[24:25], v[22:23], v[18:19]
	v_fma_f64 v[16:17], -v[16:17], v[24:25], v[22:23]
	s_nop 1
	v_div_fmas_f64 v[22:23], v[16:17], v[18:19], v[24:25]
	ds_read_b128 v[16:19], v1
	v_div_fixup_f64 v[32:33], v[22:23], v[20:21], 1.0
	ds_read_b128 v[20:23], v11
	ds_read_b128 v[24:27], v43 offset:1024
	s_waitcnt lgkmcnt(2)
	v_mul_f64 v[28:29], v[6:7], v[18:19]
	v_mul_f64 v[6:7], v[6:7], -v[16:17]
	s_waitcnt lgkmcnt(0)
	v_mul_f64 v[36:37], v[26:27], v[26:27]
	v_fmac_f64_e32 v[36:37], v[24:25], v[24:25]
	v_div_scale_f64 v[38:39], s[4:5], v[36:37], v[36:37], 1.0
	v_rcp_f64_e32 v[40:41], v[38:39]
	v_fmac_f64_e32 v[28:29], v[16:17], v[4:5]
	v_fmac_f64_e32 v[6:7], v[18:19], v[4:5]
	v_mul_f64 v[34:35], v[32:33], v[28:29]
	v_fma_f64 v[4:5], -v[38:39], v[40:41], 1.0
	v_fmac_f64_e32 v[40:41], v[40:41], v[4:5]
	v_fma_f64 v[4:5], -v[38:39], v[40:41], 1.0
	v_fmac_f64_e32 v[40:41], v[40:41], v[4:5]
	v_div_scale_f64 v[4:5], vcc, 1.0, v[36:37], 1.0
	v_mul_f64 v[16:17], v[4:5], v[40:41]
	ds_read_b128 v[28:31], v43
	v_mul_f64 v[32:33], v[32:33], v[6:7]
	v_fma_f64 v[18:19], -v[38:39], v[16:17], v[4:5]
	ds_read_b128 v[4:7], v10
	v_div_fmas_f64 v[16:17], v[18:19], v[40:41], v[16:17]
	v_div_fixup_f64 v[36:37], v[16:17], v[36:37], 1.0
	ds_read_b128 v[16:19], v1 offset:4096
	s_waitcnt lgkmcnt(1)
	v_mul_f64 v[38:39], v[26:27], v[6:7]
	v_fmac_f64_e32 v[38:39], v[4:5], v[24:25]
	v_mul_f64 v[4:5], v[26:27], -v[4:5]
	v_fmac_f64_e32 v[4:5], v[6:7], v[24:25]
	v_mul_f64 v[38:39], v[36:37], v[38:39]
	v_mul_f64 v[36:37], v[36:37], v[4:5]
	v_mul_f64 v[4:5], v[32:33], -v[14:15]
	v_mul_f64 v[6:7], v[32:33], v[12:13]
	v_fmac_f64_e32 v[4:5], v[12:13], v[34:35]
	v_fmac_f64_e32 v[6:7], v[14:15], v[34:35]
	v_add_f64 v[12:13], v[20:21], -v[4:5]
	v_add_f64 v[14:15], v[22:23], -v[6:7]
	ds_read_b128 v[4:7], v3 offset:4064
	ds_read_b128 v[24:27], v43 offset:4096
	v_mul_f64 v[20:21], v[36:37], -v[30:31]
	v_mul_f64 v[22:23], v[36:37], v[28:29]
	v_fmac_f64_e32 v[20:21], v[28:29], v[38:39]
	v_fmac_f64_e32 v[22:23], v[30:31], v[38:39]
	s_waitcnt lgkmcnt(1)
	v_mul_f64 v[28:29], v[32:33], -v[6:7]
	v_add_f64 v[12:13], v[12:13], -v[20:21]
	v_add_f64 v[14:15], v[14:15], -v[22:23]
	ds_read_b128 v[20:23], v42
	v_fmac_f64_e32 v[28:29], v[4:5], v[34:35]
	v_mul_f64 v[4:5], v[32:33], v[4:5]
	v_fmac_f64_e32 v[4:5], v[6:7], v[34:35]
	v_add_f64 v[16:17], v[16:17], -v[28:29]
	v_add_f64 v[18:19], v[18:19], -v[4:5]
	ds_read_b128 v[4:7], v43 offset:2048
	s_waitcnt lgkmcnt(2)
	v_mul_f64 v[28:29], v[36:37], -v[26:27]
	v_fmac_f64_e32 v[28:29], v[24:25], v[38:39]
	v_mul_f64 v[24:25], v[36:37], v[24:25]
	v_fmac_f64_e32 v[24:25], v[26:27], v[38:39]
	v_add_f64 v[18:19], v[18:19], -v[24:25]
	s_waitcnt lgkmcnt(1)
	v_mul_f64 v[24:25], v[32:33], v[22:23]
	v_fma_f64 v[24:25], -v[20:21], v[34:35], v[24:25]
	v_mul_f64 v[20:21], v[32:33], -v[20:21]
	v_fma_f64 v[26:27], -v[22:23], v[34:35], v[20:21]
	s_waitcnt lgkmcnt(0)
	v_mul_f64 v[20:21], v[36:37], v[6:7]
	v_max_u32_e32 v3, 4, v0
	v_fma_f64 v[20:21], -v[4:5], v[38:39], v[20:21]
	v_mul_f64 v[4:5], v[36:37], -v[4:5]
	v_lshlrev_b32_e32 v3, 4, v3
	v_add_f64 v[16:17], v[16:17], -v[28:29]
	v_fma_f64 v[22:23], -v[6:7], v[38:39], v[4:5]
	s_waitcnt lgkmcnt(0)
	; wave barrier
	ds_write_b128 v11, v[12:15]
	ds_write_b128 v1, v[16:19] offset:4096
	ds_write_b128 v1, v[24:27]
	ds_write_b128 v10, v[20:23]
	s_waitcnt lgkmcnt(0)
	; wave barrier
	s_waitcnt lgkmcnt(0)
	ds_read_b128 v[4:7], v3 offset:960
	v_add_u32_e32 v22, 4, v0
	v_cmp_gt_i32_e32 vcc, s8, v22
	v_cndmask_b32_e32 v26, v2, v22, vcc
	ds_read_b128 v[12:15], v3 offset:1984
	s_waitcnt lgkmcnt(1)
	v_mul_f64 v[20:21], v[6:7], v[6:7]
	v_fmac_f64_e32 v[20:21], v[4:5], v[4:5]
	v_div_scale_f64 v[16:17], s[4:5], v[20:21], v[20:21], 1.0
	v_rcp_f64_e32 v[18:19], v[16:17]
	v_lshlrev_b32_e32 v43, 4, v26
	v_subrev_u32_e32 v42, 64, v3
	v_fma_f64 v[22:23], -v[16:17], v[18:19], 1.0
	v_fmac_f64_e32 v[18:19], v[18:19], v[22:23]
	v_fma_f64 v[22:23], -v[16:17], v[18:19], 1.0
	v_fmac_f64_e32 v[18:19], v[18:19], v[22:23]
	v_div_scale_f64 v[22:23], vcc, 1.0, v[20:21], 1.0
	v_mul_f64 v[24:25], v[22:23], v[18:19]
	v_fma_f64 v[16:17], -v[16:17], v[24:25], v[22:23]
	s_nop 1
	v_div_fmas_f64 v[22:23], v[16:17], v[18:19], v[24:25]
	ds_read_b128 v[16:19], v1
	v_div_fixup_f64 v[32:33], v[22:23], v[20:21], 1.0
	ds_read_b128 v[20:23], v11
	ds_read_b128 v[24:27], v43 offset:1024
	s_waitcnt lgkmcnt(2)
	v_mul_f64 v[28:29], v[6:7], v[18:19]
	v_mul_f64 v[6:7], v[6:7], -v[16:17]
	s_waitcnt lgkmcnt(0)
	v_mul_f64 v[36:37], v[26:27], v[26:27]
	v_fmac_f64_e32 v[36:37], v[24:25], v[24:25]
	v_div_scale_f64 v[38:39], s[4:5], v[36:37], v[36:37], 1.0
	v_rcp_f64_e32 v[40:41], v[38:39]
	v_fmac_f64_e32 v[28:29], v[16:17], v[4:5]
	v_fmac_f64_e32 v[6:7], v[18:19], v[4:5]
	v_mul_f64 v[34:35], v[32:33], v[28:29]
	v_fma_f64 v[4:5], -v[38:39], v[40:41], 1.0
	v_fmac_f64_e32 v[40:41], v[40:41], v[4:5]
	v_fma_f64 v[4:5], -v[38:39], v[40:41], 1.0
	v_fmac_f64_e32 v[40:41], v[40:41], v[4:5]
	v_div_scale_f64 v[4:5], vcc, 1.0, v[36:37], 1.0
	v_mul_f64 v[16:17], v[4:5], v[40:41]
	ds_read_b128 v[28:31], v43
	v_mul_f64 v[32:33], v[32:33], v[6:7]
	v_fma_f64 v[18:19], -v[38:39], v[16:17], v[4:5]
	ds_read_b128 v[4:7], v10
	v_div_fmas_f64 v[16:17], v[18:19], v[40:41], v[16:17]
	v_div_fixup_f64 v[36:37], v[16:17], v[36:37], 1.0
	ds_read_b128 v[16:19], v1 offset:4096
	s_waitcnt lgkmcnt(1)
	v_mul_f64 v[38:39], v[26:27], v[6:7]
	v_fmac_f64_e32 v[38:39], v[4:5], v[24:25]
	v_mul_f64 v[4:5], v[26:27], -v[4:5]
	v_fmac_f64_e32 v[4:5], v[6:7], v[24:25]
	v_mul_f64 v[38:39], v[36:37], v[38:39]
	v_mul_f64 v[36:37], v[36:37], v[4:5]
	v_mul_f64 v[4:5], v[32:33], -v[14:15]
	v_mul_f64 v[6:7], v[32:33], v[12:13]
	v_fmac_f64_e32 v[4:5], v[12:13], v[34:35]
	v_fmac_f64_e32 v[6:7], v[14:15], v[34:35]
	v_add_f64 v[12:13], v[20:21], -v[4:5]
	v_add_f64 v[14:15], v[22:23], -v[6:7]
	ds_read_b128 v[4:7], v3 offset:4032
	ds_read_b128 v[24:27], v43 offset:4096
	v_mul_f64 v[20:21], v[36:37], -v[30:31]
	v_mul_f64 v[22:23], v[36:37], v[28:29]
	v_fmac_f64_e32 v[20:21], v[28:29], v[38:39]
	v_fmac_f64_e32 v[22:23], v[30:31], v[38:39]
	s_waitcnt lgkmcnt(1)
	v_mul_f64 v[28:29], v[32:33], -v[6:7]
	v_add_f64 v[12:13], v[12:13], -v[20:21]
	v_add_f64 v[14:15], v[14:15], -v[22:23]
	ds_read_b128 v[20:23], v42
	v_fmac_f64_e32 v[28:29], v[4:5], v[34:35]
	v_mul_f64 v[4:5], v[32:33], v[4:5]
	v_fmac_f64_e32 v[4:5], v[6:7], v[34:35]
	v_add_f64 v[16:17], v[16:17], -v[28:29]
	v_add_f64 v[18:19], v[18:19], -v[4:5]
	ds_read_b128 v[4:7], v43 offset:2048
	s_waitcnt lgkmcnt(2)
	v_mul_f64 v[28:29], v[36:37], -v[26:27]
	v_fmac_f64_e32 v[28:29], v[24:25], v[38:39]
	v_mul_f64 v[24:25], v[36:37], v[24:25]
	v_fmac_f64_e32 v[24:25], v[26:27], v[38:39]
	v_add_f64 v[18:19], v[18:19], -v[24:25]
	s_waitcnt lgkmcnt(1)
	v_mul_f64 v[24:25], v[32:33], v[22:23]
	v_fma_f64 v[24:25], -v[20:21], v[34:35], v[24:25]
	v_mul_f64 v[20:21], v[32:33], -v[20:21]
	v_fma_f64 v[26:27], -v[22:23], v[34:35], v[20:21]
	s_waitcnt lgkmcnt(0)
	v_mul_f64 v[20:21], v[36:37], v[6:7]
	v_max_u32_e32 v3, 8, v0
	v_fma_f64 v[20:21], -v[4:5], v[38:39], v[20:21]
	v_mul_f64 v[4:5], v[36:37], -v[4:5]
	v_lshlrev_b32_e32 v3, 4, v3
	v_add_f64 v[16:17], v[16:17], -v[28:29]
	v_fma_f64 v[22:23], -v[6:7], v[38:39], v[4:5]
	s_waitcnt lgkmcnt(0)
	; wave barrier
	ds_write_b128 v11, v[12:15]
	ds_write_b128 v1, v[16:19] offset:4096
	ds_write_b128 v1, v[24:27]
	ds_write_b128 v10, v[20:23]
	s_waitcnt lgkmcnt(0)
	; wave barrier
	s_waitcnt lgkmcnt(0)
	ds_read_b128 v[4:7], v3 offset:896
	v_add_u32_e32 v22, 8, v0
	v_cmp_gt_i32_e32 vcc, s8, v22
	v_cndmask_b32_e32 v26, v2, v22, vcc
	ds_read_b128 v[12:15], v3 offset:1920
	s_waitcnt lgkmcnt(1)
	v_mul_f64 v[20:21], v[6:7], v[6:7]
	v_fmac_f64_e32 v[20:21], v[4:5], v[4:5]
	v_div_scale_f64 v[16:17], s[4:5], v[20:21], v[20:21], 1.0
	v_rcp_f64_e32 v[18:19], v[16:17]
	v_lshlrev_b32_e32 v43, 4, v26
	v_add_u32_e32 v42, 0xffffff80, v3
	v_fma_f64 v[22:23], -v[16:17], v[18:19], 1.0
	v_fmac_f64_e32 v[18:19], v[18:19], v[22:23]
	v_fma_f64 v[22:23], -v[16:17], v[18:19], 1.0
	v_fmac_f64_e32 v[18:19], v[18:19], v[22:23]
	v_div_scale_f64 v[22:23], vcc, 1.0, v[20:21], 1.0
	v_mul_f64 v[24:25], v[22:23], v[18:19]
	v_fma_f64 v[16:17], -v[16:17], v[24:25], v[22:23]
	s_nop 1
	v_div_fmas_f64 v[22:23], v[16:17], v[18:19], v[24:25]
	ds_read_b128 v[16:19], v1
	v_div_fixup_f64 v[32:33], v[22:23], v[20:21], 1.0
	ds_read_b128 v[20:23], v11
	ds_read_b128 v[24:27], v43 offset:1024
	s_waitcnt lgkmcnt(2)
	v_mul_f64 v[28:29], v[6:7], v[18:19]
	v_mul_f64 v[6:7], v[6:7], -v[16:17]
	s_waitcnt lgkmcnt(0)
	v_mul_f64 v[36:37], v[26:27], v[26:27]
	v_fmac_f64_e32 v[36:37], v[24:25], v[24:25]
	v_div_scale_f64 v[38:39], s[4:5], v[36:37], v[36:37], 1.0
	v_rcp_f64_e32 v[40:41], v[38:39]
	v_fmac_f64_e32 v[28:29], v[16:17], v[4:5]
	v_fmac_f64_e32 v[6:7], v[18:19], v[4:5]
	v_mul_f64 v[34:35], v[32:33], v[28:29]
	v_fma_f64 v[4:5], -v[38:39], v[40:41], 1.0
	v_fmac_f64_e32 v[40:41], v[40:41], v[4:5]
	v_fma_f64 v[4:5], -v[38:39], v[40:41], 1.0
	v_fmac_f64_e32 v[40:41], v[40:41], v[4:5]
	v_div_scale_f64 v[4:5], vcc, 1.0, v[36:37], 1.0
	v_mul_f64 v[16:17], v[4:5], v[40:41]
	ds_read_b128 v[28:31], v43
	v_mul_f64 v[32:33], v[32:33], v[6:7]
	v_fma_f64 v[18:19], -v[38:39], v[16:17], v[4:5]
	ds_read_b128 v[4:7], v10
	v_div_fmas_f64 v[16:17], v[18:19], v[40:41], v[16:17]
	v_div_fixup_f64 v[36:37], v[16:17], v[36:37], 1.0
	ds_read_b128 v[16:19], v1 offset:4096
	s_waitcnt lgkmcnt(1)
	v_mul_f64 v[38:39], v[26:27], v[6:7]
	v_fmac_f64_e32 v[38:39], v[4:5], v[24:25]
	v_mul_f64 v[4:5], v[26:27], -v[4:5]
	v_fmac_f64_e32 v[4:5], v[6:7], v[24:25]
	v_mul_f64 v[38:39], v[36:37], v[38:39]
	v_mul_f64 v[36:37], v[36:37], v[4:5]
	v_mul_f64 v[4:5], v[32:33], -v[14:15]
	v_mul_f64 v[6:7], v[32:33], v[12:13]
	v_fmac_f64_e32 v[4:5], v[12:13], v[34:35]
	v_fmac_f64_e32 v[6:7], v[14:15], v[34:35]
	v_add_f64 v[12:13], v[20:21], -v[4:5]
	v_add_f64 v[14:15], v[22:23], -v[6:7]
	ds_read_b128 v[4:7], v3 offset:3968
	ds_read_b128 v[24:27], v43 offset:4096
	v_mul_f64 v[20:21], v[36:37], -v[30:31]
	v_mul_f64 v[22:23], v[36:37], v[28:29]
	v_fmac_f64_e32 v[20:21], v[28:29], v[38:39]
	v_fmac_f64_e32 v[22:23], v[30:31], v[38:39]
	s_waitcnt lgkmcnt(1)
	v_mul_f64 v[28:29], v[32:33], -v[6:7]
	v_add_f64 v[12:13], v[12:13], -v[20:21]
	v_add_f64 v[14:15], v[14:15], -v[22:23]
	ds_read_b128 v[20:23], v42
	v_fmac_f64_e32 v[28:29], v[4:5], v[34:35]
	v_mul_f64 v[4:5], v[32:33], v[4:5]
	v_fmac_f64_e32 v[4:5], v[6:7], v[34:35]
	v_add_f64 v[16:17], v[16:17], -v[28:29]
	v_add_f64 v[18:19], v[18:19], -v[4:5]
	ds_read_b128 v[4:7], v43 offset:2048
	s_waitcnt lgkmcnt(2)
	v_mul_f64 v[28:29], v[36:37], -v[26:27]
	v_fmac_f64_e32 v[28:29], v[24:25], v[38:39]
	v_mul_f64 v[24:25], v[36:37], v[24:25]
	v_fmac_f64_e32 v[24:25], v[26:27], v[38:39]
	v_add_f64 v[18:19], v[18:19], -v[24:25]
	s_waitcnt lgkmcnt(1)
	v_mul_f64 v[24:25], v[32:33], v[22:23]
	v_fma_f64 v[24:25], -v[20:21], v[34:35], v[24:25]
	v_mul_f64 v[20:21], v[32:33], -v[20:21]
	v_fma_f64 v[26:27], -v[22:23], v[34:35], v[20:21]
	s_waitcnt lgkmcnt(0)
	v_mul_f64 v[20:21], v[36:37], v[6:7]
	v_max_u32_e32 v3, 16, v0
	v_fma_f64 v[20:21], -v[4:5], v[38:39], v[20:21]
	v_mul_f64 v[4:5], v[36:37], -v[4:5]
	v_lshlrev_b32_e32 v40, 4, v3
	v_add_f64 v[16:17], v[16:17], -v[28:29]
	v_fma_f64 v[22:23], -v[6:7], v[38:39], v[4:5]
	s_waitcnt lgkmcnt(0)
	; wave barrier
	ds_write_b128 v11, v[12:15]
	ds_write_b128 v1, v[16:19] offset:4096
	ds_write_b128 v1, v[24:27]
	ds_write_b128 v10, v[20:23]
	s_waitcnt lgkmcnt(0)
	; wave barrier
	s_waitcnt lgkmcnt(0)
	ds_read_b128 v[4:7], v40 offset:768
	v_add_u32_e32 v3, 16, v0
	v_cmp_gt_i32_e32 vcc, s8, v3
	v_cndmask_b32_e32 v24, v2, v3, vcc
	ds_read_b128 v[12:15], v40 offset:1792
	s_waitcnt lgkmcnt(1)
	v_mul_f64 v[20:21], v[6:7], v[6:7]
	v_fmac_f64_e32 v[20:21], v[4:5], v[4:5]
	v_div_scale_f64 v[16:17], s[4:5], v[20:21], v[20:21], 1.0
	v_rcp_f64_e32 v[18:19], v[16:17]
	v_lshlrev_b32_e32 v42, 4, v24
	v_add_u32_e32 v41, 0xffffff00, v40
	v_fma_f64 v[2:3], -v[16:17], v[18:19], 1.0
	v_fmac_f64_e32 v[18:19], v[18:19], v[2:3]
	v_fma_f64 v[2:3], -v[16:17], v[18:19], 1.0
	v_fmac_f64_e32 v[18:19], v[18:19], v[2:3]
	v_div_scale_f64 v[2:3], vcc, 1.0, v[20:21], 1.0
	v_mul_f64 v[22:23], v[2:3], v[18:19]
	v_fma_f64 v[2:3], -v[16:17], v[22:23], v[2:3]
	s_nop 1
	v_div_fmas_f64 v[2:3], v[2:3], v[18:19], v[22:23]
	ds_read_b128 v[16:19], v1
	v_div_fixup_f64 v[2:3], v[2:3], v[20:21], 1.0
	ds_read_b128 v[20:23], v11
	ds_read_b128 v[24:27], v42 offset:1024
	s_waitcnt lgkmcnt(2)
	v_mul_f64 v[28:29], v[6:7], v[18:19]
	v_mul_f64 v[6:7], v[6:7], -v[16:17]
	s_waitcnt lgkmcnt(0)
	v_mul_f64 v[34:35], v[26:27], v[26:27]
	v_fmac_f64_e32 v[34:35], v[24:25], v[24:25]
	v_div_scale_f64 v[36:37], s[4:5], v[34:35], v[34:35], 1.0
	v_rcp_f64_e32 v[38:39], v[36:37]
	v_fmac_f64_e32 v[28:29], v[16:17], v[4:5]
	v_fmac_f64_e32 v[6:7], v[18:19], v[4:5]
	v_mul_f64 v[32:33], v[2:3], v[28:29]
	v_mul_f64 v[6:7], v[2:3], v[6:7]
	v_fma_f64 v[2:3], -v[36:37], v[38:39], 1.0
	v_fmac_f64_e32 v[38:39], v[38:39], v[2:3]
	v_fma_f64 v[2:3], -v[36:37], v[38:39], 1.0
	v_fmac_f64_e32 v[38:39], v[38:39], v[2:3]
	v_div_scale_f64 v[2:3], vcc, 1.0, v[34:35], 1.0
	v_mul_f64 v[16:17], v[2:3], v[38:39]
	v_fma_f64 v[18:19], -v[36:37], v[16:17], v[2:3]
	ds_read_b128 v[2:5], v10
	s_nop 0
	v_div_fmas_f64 v[16:17], v[18:19], v[38:39], v[16:17]
	v_div_fixup_f64 v[34:35], v[16:17], v[34:35], 1.0
	ds_read_b128 v[16:19], v1 offset:4096
	ds_read_b128 v[28:31], v42
	s_waitcnt lgkmcnt(2)
	v_mul_f64 v[36:37], v[26:27], v[4:5]
	v_fmac_f64_e32 v[36:37], v[2:3], v[24:25]
	v_mul_f64 v[2:3], v[26:27], -v[2:3]
	v_fmac_f64_e32 v[2:3], v[4:5], v[24:25]
	ds_read_b128 v[24:27], v42 offset:4096
	v_mul_f64 v[36:37], v[34:35], v[36:37]
	v_mul_f64 v[34:35], v[34:35], v[2:3]
	v_mul_f64 v[2:3], v[6:7], -v[14:15]
	v_mul_f64 v[4:5], v[6:7], v[12:13]
	v_fmac_f64_e32 v[2:3], v[12:13], v[32:33]
	v_fmac_f64_e32 v[4:5], v[14:15], v[32:33]
	v_add_f64 v[12:13], v[20:21], -v[2:3]
	v_add_f64 v[14:15], v[22:23], -v[4:5]
	ds_read_b128 v[2:5], v40 offset:3840
	s_waitcnt lgkmcnt(2)
	v_mul_f64 v[20:21], v[34:35], -v[30:31]
	v_mul_f64 v[22:23], v[34:35], v[28:29]
	v_fmac_f64_e32 v[20:21], v[28:29], v[36:37]
	v_fmac_f64_e32 v[22:23], v[30:31], v[36:37]
	v_add_f64 v[12:13], v[12:13], -v[20:21]
	v_add_f64 v[14:15], v[14:15], -v[22:23]
	ds_read_b128 v[20:23], v41
	s_waitcnt lgkmcnt(1)
	v_mul_f64 v[28:29], v[6:7], -v[4:5]
	v_fmac_f64_e32 v[28:29], v[2:3], v[32:33]
	v_mul_f64 v[2:3], v[6:7], v[2:3]
	v_fmac_f64_e32 v[2:3], v[4:5], v[32:33]
	v_add_f64 v[18:19], v[18:19], -v[2:3]
	ds_read_b128 v[2:5], v42 offset:2048
	v_add_f64 v[16:17], v[16:17], -v[28:29]
	v_mul_f64 v[28:29], v[34:35], -v[26:27]
	v_fmac_f64_e32 v[28:29], v[24:25], v[36:37]
	v_mul_f64 v[24:25], v[34:35], v[24:25]
	v_fmac_f64_e32 v[24:25], v[26:27], v[36:37]
	v_add_f64 v[18:19], v[18:19], -v[24:25]
	s_waitcnt lgkmcnt(1)
	v_mul_f64 v[24:25], v[6:7], v[22:23]
	v_mul_f64 v[6:7], v[6:7], -v[20:21]
	v_fma_f64 v[26:27], -v[22:23], v[32:33], v[6:7]
	s_waitcnt lgkmcnt(0)
	v_mul_f64 v[6:7], v[34:35], v[4:5]
	v_fma_f64 v[24:25], -v[20:21], v[32:33], v[24:25]
	v_fma_f64 v[20:21], -v[2:3], v[36:37], v[6:7]
	v_mul_f64 v[2:3], v[34:35], -v[2:3]
	v_cmp_gt_u32_e32 vcc, 32, v0
	v_add_f64 v[16:17], v[16:17], -v[28:29]
	v_fma_f64 v[22:23], -v[4:5], v[36:37], v[2:3]
	s_waitcnt lgkmcnt(0)
	; wave barrier
	ds_write_b128 v11, v[12:15]
	ds_write_b128 v1, v[16:19] offset:4096
	ds_write_b128 v1, v[24:27]
	ds_write_b128 v10, v[20:23]
	s_waitcnt lgkmcnt(0)
	; wave barrier
	s_waitcnt lgkmcnt(0)
	s_and_saveexec_b64 s[4:5], vcc
	s_cbranch_execz .LBB76_14
; %bb.9:
	v_or_b32_e32 v6, 32, v0
	v_or_b32_e32 v7, 0x1000, v1
	v_cmp_le_i32_e32 vcc, s8, v6
                                        ; implicit-def: $vgpr4_vgpr5
	s_and_saveexec_b64 s[6:7], vcc
	s_xor_b64 s[6:7], exec, s[6:7]
	s_cbranch_execz .LBB76_11
; %bb.10:
	ds_read_b128 v[10:13], v11
	ds_read_b128 v[4:7], v7
                                        ; implicit-def: $vgpr1
	s_waitcnt lgkmcnt(1)
	v_mul_f64 v[2:3], v[12:13], v[12:13]
	v_fmac_f64_e32 v[2:3], v[10:11], v[10:11]
	v_div_scale_f64 v[16:17], s[8:9], v[2:3], v[2:3], 1.0
	v_rcp_f64_e32 v[18:19], v[16:17]
	v_div_scale_f64 v[20:21], vcc, 1.0, v[2:3], 1.0
	s_waitcnt lgkmcnt(0)
	v_mul_f64 v[14:15], v[12:13], v[6:7]
	v_fma_f64 v[22:23], -v[16:17], v[18:19], 1.0
	v_fmac_f64_e32 v[18:19], v[18:19], v[22:23]
	v_fma_f64 v[22:23], -v[16:17], v[18:19], 1.0
	v_fmac_f64_e32 v[18:19], v[18:19], v[22:23]
	v_mul_f64 v[22:23], v[20:21], v[18:19]
	v_fma_f64 v[16:17], -v[16:17], v[22:23], v[20:21]
	v_fmac_f64_e32 v[14:15], v[4:5], v[10:11]
	v_div_fmas_f64 v[16:17], v[16:17], v[18:19], v[22:23]
	v_mul_f64 v[4:5], v[12:13], -v[4:5]
	v_div_fixup_f64 v[16:17], v[16:17], v[2:3], 1.0
	v_fmac_f64_e32 v[4:5], v[6:7], v[10:11]
	v_mul_f64 v[2:3], v[16:17], v[14:15]
	v_mul_f64 v[4:5], v[16:17], v[4:5]
	v_mov_b32_e32 v6, v0
                                        ; implicit-def: $vgpr11
                                        ; implicit-def: $vgpr10
                                        ; implicit-def: $vgpr7
.LBB76_11:
	s_andn2_saveexec_b64 s[6:7], s[6:7]
	s_cbranch_execz .LBB76_13
; %bb.12:
	ds_read_b128 v[2:5], v11
	ds_read_b128 v[12:15], v11 offset:512
	ds_read_b128 v[16:19], v1 offset:512
	ds_read_b128 v[20:23], v10
	s_waitcnt lgkmcnt(2)
	v_mul_f64 v[24:25], v[4:5], v[12:13]
	v_mul_f64 v[10:11], v[4:5], -v[14:15]
	s_waitcnt lgkmcnt(0)
	v_mul_f64 v[28:29], v[18:19], v[20:21]
	v_fmac_f64_e32 v[24:25], v[14:15], v[2:3]
	v_mul_f64 v[26:27], v[18:19], -v[22:23]
	v_fmac_f64_e32 v[28:29], v[22:23], v[16:17]
	v_fmac_f64_e32 v[10:11], v[12:13], v[2:3]
	;; [unrolled: 1-line block ×3, first 2 shown]
	v_add_f64 v[28:29], v[24:25], -v[28:29]
	v_add_f64 v[10:11], v[10:11], -v[26:27]
	v_mul_f64 v[24:25], v[28:29], v[28:29]
	v_fmac_f64_e32 v[24:25], v[10:11], v[10:11]
	v_div_scale_f64 v[26:27], s[8:9], v[24:25], v[24:25], 1.0
	v_rcp_f64_e32 v[30:31], v[26:27]
	v_fma_f64 v[32:33], -v[26:27], v[30:31], 1.0
	v_fmac_f64_e32 v[30:31], v[30:31], v[32:33]
	v_fma_f64 v[32:33], -v[26:27], v[30:31], 1.0
	v_fmac_f64_e32 v[30:31], v[30:31], v[32:33]
	v_div_scale_f64 v[32:33], vcc, 1.0, v[24:25], 1.0
	v_mul_f64 v[34:35], v[32:33], v[30:31]
	v_fma_f64 v[26:27], -v[26:27], v[34:35], v[32:33]
	v_fma_f64 v[32:33], 0, v[28:29], v[10:11]
	s_nop 0
	v_div_fmas_f64 v[26:27], v[26:27], v[30:31], v[34:35]
	v_div_fixup_f64 v[30:31], v[26:27], v[24:25], 1.0
	ds_read_b128 v[24:27], v7
	v_fma_f64 v[10:11], v[10:11], 0, -v[28:29]
	v_mul_f64 v[32:33], v[32:33], v[30:31]
	v_mul_f64 v[34:35], v[10:11], v[30:31]
	ds_read_b128 v[28:31], v7 offset:512
	s_waitcnt lgkmcnt(1)
	v_mul_f64 v[10:11], v[26:27], -v[14:15]
	v_fmac_f64_e32 v[10:11], v[12:13], v[24:25]
	v_mul_f64 v[12:13], v[12:13], v[26:27]
	v_fmac_f64_e32 v[12:13], v[14:15], v[24:25]
	s_waitcnt lgkmcnt(0)
	v_mul_f64 v[14:15], v[30:31], -v[22:23]
	v_fmac_f64_e32 v[14:15], v[20:21], v[28:29]
	v_mul_f64 v[20:21], v[20:21], v[30:31]
	v_fmac_f64_e32 v[20:21], v[22:23], v[28:29]
	v_add_f64 v[14:15], v[10:11], -v[14:15]
	v_add_f64 v[20:21], v[12:13], -v[20:21]
	v_mul_f64 v[10:11], v[34:35], -v[20:21]
	v_mul_f64 v[12:13], v[34:35], v[14:15]
	v_fmac_f64_e32 v[10:11], v[14:15], v[32:33]
	v_fmac_f64_e32 v[12:13], v[20:21], v[32:33]
	ds_write_b128 v1, v[10:13] offset:3072
	v_mul_f64 v[10:11], v[4:5], -v[30:31]
	v_mul_f64 v[4:5], v[4:5], v[28:29]
	v_fmac_f64_e32 v[10:11], v[28:29], v[2:3]
	v_fmac_f64_e32 v[4:5], v[30:31], v[2:3]
	v_mul_f64 v[2:3], v[18:19], -v[26:27]
	v_mul_f64 v[12:13], v[18:19], v[24:25]
	v_fmac_f64_e32 v[2:3], v[24:25], v[16:17]
	v_fmac_f64_e32 v[12:13], v[26:27], v[16:17]
	v_add_f64 v[10:11], v[10:11], -v[2:3]
	v_add_f64 v[12:13], v[4:5], -v[12:13]
	v_mul_f64 v[2:3], v[34:35], -v[12:13]
	v_mul_f64 v[4:5], v[34:35], v[10:11]
	v_fmac_f64_e32 v[2:3], v[10:11], v[32:33]
	v_fmac_f64_e32 v[4:5], v[12:13], v[32:33]
.LBB76_13:
	s_or_b64 exec, exec, s[6:7]
	v_lshlrev_b32_e32 v1, 4, v6
	ds_write_b128 v1, v[2:5] offset:3072
.LBB76_14:
	s_or_b64 exec, exec, s[4:5]
	s_waitcnt lgkmcnt(0)
	; wave barrier
	s_waitcnt lgkmcnt(0)
	s_and_saveexec_b64 s[4:5], s[0:1]
	s_cbranch_execz .LBB76_16
; %bb.15:
	v_mov_b32_e32 v1, 0xc00
	v_lshl_or_b32 v0, v0, 4, v1
	ds_read2_b64 v[0:3], v0 offset1:1
	v_lshlrev_b64 v[4:5], 4, v[8:9]
	v_mov_b32_e32 v6, s3
	v_add_co_u32_e32 v4, vcc, s2, v4
	v_addc_co_u32_e32 v5, vcc, v6, v5, vcc
	s_waitcnt lgkmcnt(0)
	global_store_dwordx4 v[4:5], v[0:3], off
.LBB76_16:
	s_endpgm
	.section	.rodata,"a",@progbits
	.p2align	6, 0x0
	.amdhsa_kernel _ZN9rocsparseL44gtsv_nopivot_strided_batch_pcr_shared_kernelILj64E21rocsparse_complex_numIdEEEviiiPKT0_S5_S5_PS3_
		.amdhsa_group_segment_fixed_size 5120
		.amdhsa_private_segment_fixed_size 0
		.amdhsa_kernarg_size 48
		.amdhsa_user_sgpr_count 6
		.amdhsa_user_sgpr_private_segment_buffer 1
		.amdhsa_user_sgpr_dispatch_ptr 0
		.amdhsa_user_sgpr_queue_ptr 0
		.amdhsa_user_sgpr_kernarg_segment_ptr 1
		.amdhsa_user_sgpr_dispatch_id 0
		.amdhsa_user_sgpr_flat_scratch_init 0
		.amdhsa_user_sgpr_kernarg_preload_length 0
		.amdhsa_user_sgpr_kernarg_preload_offset 0
		.amdhsa_user_sgpr_private_segment_size 0
		.amdhsa_uses_dynamic_stack 0
		.amdhsa_system_sgpr_private_segment_wavefront_offset 0
		.amdhsa_system_sgpr_workgroup_id_x 1
		.amdhsa_system_sgpr_workgroup_id_y 0
		.amdhsa_system_sgpr_workgroup_id_z 0
		.amdhsa_system_sgpr_workgroup_info 0
		.amdhsa_system_vgpr_workitem_id 0
		.amdhsa_next_free_vgpr 44
		.amdhsa_next_free_sgpr 10
		.amdhsa_accum_offset 44
		.amdhsa_reserve_vcc 1
		.amdhsa_reserve_flat_scratch 0
		.amdhsa_float_round_mode_32 0
		.amdhsa_float_round_mode_16_64 0
		.amdhsa_float_denorm_mode_32 3
		.amdhsa_float_denorm_mode_16_64 3
		.amdhsa_dx10_clamp 1
		.amdhsa_ieee_mode 1
		.amdhsa_fp16_overflow 0
		.amdhsa_tg_split 0
		.amdhsa_exception_fp_ieee_invalid_op 0
		.amdhsa_exception_fp_denorm_src 0
		.amdhsa_exception_fp_ieee_div_zero 0
		.amdhsa_exception_fp_ieee_overflow 0
		.amdhsa_exception_fp_ieee_underflow 0
		.amdhsa_exception_fp_ieee_inexact 0
		.amdhsa_exception_int_div_zero 0
	.end_amdhsa_kernel
	.section	.text._ZN9rocsparseL44gtsv_nopivot_strided_batch_pcr_shared_kernelILj64E21rocsparse_complex_numIdEEEviiiPKT0_S5_S5_PS3_,"axG",@progbits,_ZN9rocsparseL44gtsv_nopivot_strided_batch_pcr_shared_kernelILj64E21rocsparse_complex_numIdEEEviiiPKT0_S5_S5_PS3_,comdat
.Lfunc_end76:
	.size	_ZN9rocsparseL44gtsv_nopivot_strided_batch_pcr_shared_kernelILj64E21rocsparse_complex_numIdEEEviiiPKT0_S5_S5_PS3_, .Lfunc_end76-_ZN9rocsparseL44gtsv_nopivot_strided_batch_pcr_shared_kernelILj64E21rocsparse_complex_numIdEEEviiiPKT0_S5_S5_PS3_
                                        ; -- End function
	.section	.AMDGPU.csdata,"",@progbits
; Kernel info:
; codeLenInByte = 4564
; NumSgprs: 14
; NumVgprs: 44
; NumAgprs: 0
; TotalNumVgprs: 44
; ScratchSize: 0
; MemoryBound: 1
; FloatMode: 240
; IeeeMode: 1
; LDSByteSize: 5120 bytes/workgroup (compile time only)
; SGPRBlocks: 1
; VGPRBlocks: 5
; NumSGPRsForWavesPerEU: 14
; NumVGPRsForWavesPerEU: 44
; AccumOffset: 44
; Occupancy: 3
; WaveLimiterHint : 0
; COMPUTE_PGM_RSRC2:SCRATCH_EN: 0
; COMPUTE_PGM_RSRC2:USER_SGPR: 6
; COMPUTE_PGM_RSRC2:TRAP_HANDLER: 0
; COMPUTE_PGM_RSRC2:TGID_X_EN: 1
; COMPUTE_PGM_RSRC2:TGID_Y_EN: 0
; COMPUTE_PGM_RSRC2:TGID_Z_EN: 0
; COMPUTE_PGM_RSRC2:TIDIG_COMP_CNT: 0
; COMPUTE_PGM_RSRC3_GFX90A:ACCUM_OFFSET: 10
; COMPUTE_PGM_RSRC3_GFX90A:TG_SPLIT: 0
	.section	.text._ZN9rocsparseL44gtsv_nopivot_strided_batch_pcr_shared_kernelILj128E21rocsparse_complex_numIdEEEviiiPKT0_S5_S5_PS3_,"axG",@progbits,_ZN9rocsparseL44gtsv_nopivot_strided_batch_pcr_shared_kernelILj128E21rocsparse_complex_numIdEEEviiiPKT0_S5_S5_PS3_,comdat
	.globl	_ZN9rocsparseL44gtsv_nopivot_strided_batch_pcr_shared_kernelILj128E21rocsparse_complex_numIdEEEviiiPKT0_S5_S5_PS3_ ; -- Begin function _ZN9rocsparseL44gtsv_nopivot_strided_batch_pcr_shared_kernelILj128E21rocsparse_complex_numIdEEEviiiPKT0_S5_S5_PS3_
	.p2align	8
	.type	_ZN9rocsparseL44gtsv_nopivot_strided_batch_pcr_shared_kernelILj128E21rocsparse_complex_numIdEEEviiiPKT0_S5_S5_PS3_,@function
_ZN9rocsparseL44gtsv_nopivot_strided_batch_pcr_shared_kernelILj128E21rocsparse_complex_numIdEEEviiiPKT0_S5_S5_PS3_: ; @_ZN9rocsparseL44gtsv_nopivot_strided_batch_pcr_shared_kernelILj128E21rocsparse_complex_numIdEEEviiiPKT0_S5_S5_PS3_
; %bb.0:
	s_load_dword s0, s[4:5], 0x8
	s_load_dword s8, s[4:5], 0x0
	v_pk_mov_b32 v[2:3], 0, 0
	v_pk_mov_b32 v[4:5], v[2:3], v[2:3] op_sel:[0,1]
	v_pk_mov_b32 v[6:7], v[2:3], v[2:3] op_sel:[0,1]
	s_waitcnt lgkmcnt(0)
	s_mul_i32 s6, s6, s0
	v_add_u32_e32 v8, s6, v0
	v_cmp_gt_i32_e64 s[0:1], s8, v0
	v_ashrrev_i32_e32 v9, 31, v8
	s_and_saveexec_b64 s[2:3], s[0:1]
	s_cbranch_execz .LBB77_2
; %bb.1:
	s_load_dwordx2 s[6:7], s[4:5], 0x10
	v_lshlrev_b64 v[4:5], 4, v[8:9]
	s_waitcnt lgkmcnt(0)
	v_mov_b32_e32 v1, s7
	v_add_co_u32_e32 v4, vcc, s6, v4
	v_addc_co_u32_e32 v5, vcc, v1, v5, vcc
	global_load_dwordx4 v[4:7], v[4:5], off
.LBB77_2:
	s_or_b64 exec, exec, s[2:3]
	v_lshlrev_b32_e32 v1, 4, v0
	s_waitcnt vmcnt(0)
	ds_write_b128 v1, v[4:7]
	v_pk_mov_b32 v[4:5], v[2:3], v[2:3] op_sel:[0,1]
	s_and_saveexec_b64 s[2:3], s[0:1]
	s_cbranch_execz .LBB77_4
; %bb.3:
	s_load_dwordx2 s[6:7], s[4:5], 0x18
	v_lshlrev_b64 v[2:3], 4, v[8:9]
	s_waitcnt lgkmcnt(0)
	v_mov_b32_e32 v4, s7
	v_add_co_u32_e32 v2, vcc, s6, v2
	v_addc_co_u32_e32 v3, vcc, v4, v3, vcc
	global_load_dwordx4 v[2:5], v[2:3], off
.LBB77_4:
	s_or_b64 exec, exec, s[2:3]
	s_load_dwordx2 s[2:3], s[4:5], 0x28
	s_waitcnt vmcnt(0)
	ds_write_b128 v1, v[2:5] offset:2048
	v_pk_mov_b32 v[2:3], 0, 0
	v_pk_mov_b32 v[4:5], v[2:3], v[2:3] op_sel:[0,1]
	v_pk_mov_b32 v[6:7], v[2:3], v[2:3] op_sel:[0,1]
	s_and_saveexec_b64 s[6:7], s[0:1]
	s_cbranch_execz .LBB77_6
; %bb.5:
	s_load_dwordx2 s[4:5], s[4:5], 0x20
	v_lshlrev_b64 v[4:5], 4, v[8:9]
	s_waitcnt lgkmcnt(0)
	v_mov_b32_e32 v6, s5
	v_add_co_u32_e32 v4, vcc, s4, v4
	v_addc_co_u32_e32 v5, vcc, v6, v5, vcc
	global_load_dwordx4 v[4:7], v[4:5], off
.LBB77_6:
	s_or_b64 exec, exec, s[6:7]
	v_or_b32_e32 v11, 0x800, v1
	v_or_b32_e32 v10, 0x1000, v1
	s_waitcnt vmcnt(0)
	ds_write_b128 v1, v[4:7] offset:4096
	v_pk_mov_b32 v[4:5], v[2:3], v[2:3] op_sel:[0,1]
	s_and_saveexec_b64 s[4:5], s[0:1]
	s_cbranch_execz .LBB77_8
; %bb.7:
	v_lshlrev_b64 v[2:3], 4, v[8:9]
	s_waitcnt lgkmcnt(0)
	v_mov_b32_e32 v4, s3
	v_add_co_u32_e32 v2, vcc, s2, v2
	v_addc_co_u32_e32 v3, vcc, v4, v3, vcc
	global_load_dwordx4 v[2:5], v[2:3], off
.LBB77_8:
	s_or_b64 exec, exec, s[4:5]
	s_waitcnt vmcnt(0)
	ds_write_b128 v1, v[2:5] offset:8192
	v_max_u32_e32 v2, 1, v0
	v_lshlrev_b32_e32 v3, 4, v2
	s_waitcnt lgkmcnt(0)
	s_barrier
	ds_read_b128 v[4:7], v3 offset:2032
	s_add_i32 s4, s8, -1
	v_mov_b32_e32 v2, s4
	v_add_u32_e32 v22, 1, v0
	v_cmp_gt_i32_e32 vcc, s8, v22
	s_waitcnt lgkmcnt(0)
	v_mul_f64 v[20:21], v[6:7], v[6:7]
	v_fmac_f64_e32 v[20:21], v[4:5], v[4:5]
	v_div_scale_f64 v[16:17], s[4:5], v[20:21], v[20:21], 1.0
	v_rcp_f64_e32 v[18:19], v[16:17]
	v_cndmask_b32_e32 v26, v2, v22, vcc
	ds_read_b128 v[12:15], v3 offset:4080
	v_lshlrev_b32_e32 v43, 4, v26
	v_fma_f64 v[22:23], -v[16:17], v[18:19], 1.0
	v_fmac_f64_e32 v[18:19], v[18:19], v[22:23]
	v_fma_f64 v[22:23], -v[16:17], v[18:19], 1.0
	v_fmac_f64_e32 v[18:19], v[18:19], v[22:23]
	v_div_scale_f64 v[22:23], vcc, 1.0, v[20:21], 1.0
	v_mul_f64 v[24:25], v[22:23], v[18:19]
	v_fma_f64 v[16:17], -v[16:17], v[24:25], v[22:23]
	v_add_u32_e32 v42, -16, v3
	s_nop 0
	v_div_fmas_f64 v[22:23], v[16:17], v[18:19], v[24:25]
	ds_read_b128 v[16:19], v1
	v_div_fixup_f64 v[32:33], v[22:23], v[20:21], 1.0
	ds_read_b128 v[20:23], v11
	ds_read_b128 v[24:27], v43 offset:2048
	s_waitcnt lgkmcnt(2)
	v_mul_f64 v[28:29], v[6:7], v[18:19]
	v_mul_f64 v[6:7], v[6:7], -v[16:17]
	s_waitcnt lgkmcnt(0)
	v_mul_f64 v[36:37], v[26:27], v[26:27]
	v_fmac_f64_e32 v[36:37], v[24:25], v[24:25]
	v_div_scale_f64 v[38:39], s[4:5], v[36:37], v[36:37], 1.0
	v_rcp_f64_e32 v[40:41], v[38:39]
	v_fmac_f64_e32 v[28:29], v[16:17], v[4:5]
	v_fmac_f64_e32 v[6:7], v[18:19], v[4:5]
	v_mul_f64 v[34:35], v[32:33], v[28:29]
	v_fma_f64 v[4:5], -v[38:39], v[40:41], 1.0
	v_fmac_f64_e32 v[40:41], v[40:41], v[4:5]
	v_fma_f64 v[4:5], -v[38:39], v[40:41], 1.0
	v_fmac_f64_e32 v[40:41], v[40:41], v[4:5]
	v_div_scale_f64 v[4:5], vcc, 1.0, v[36:37], 1.0
	v_mul_f64 v[16:17], v[4:5], v[40:41]
	ds_read_b128 v[28:31], v43
	v_mul_f64 v[32:33], v[32:33], v[6:7]
	v_fma_f64 v[18:19], -v[38:39], v[16:17], v[4:5]
	ds_read_b128 v[4:7], v10
	v_div_fmas_f64 v[16:17], v[18:19], v[40:41], v[16:17]
	v_div_fixup_f64 v[36:37], v[16:17], v[36:37], 1.0
	ds_read_b128 v[16:19], v1 offset:8192
	s_waitcnt lgkmcnt(1)
	v_mul_f64 v[38:39], v[26:27], v[6:7]
	v_fmac_f64_e32 v[38:39], v[4:5], v[24:25]
	v_mul_f64 v[4:5], v[26:27], -v[4:5]
	v_fmac_f64_e32 v[4:5], v[6:7], v[24:25]
	v_mul_f64 v[38:39], v[36:37], v[38:39]
	v_mul_f64 v[36:37], v[36:37], v[4:5]
	v_mul_f64 v[4:5], v[32:33], -v[14:15]
	v_mul_f64 v[6:7], v[32:33], v[12:13]
	v_fmac_f64_e32 v[4:5], v[12:13], v[34:35]
	v_fmac_f64_e32 v[6:7], v[14:15], v[34:35]
	v_add_f64 v[12:13], v[20:21], -v[4:5]
	v_add_f64 v[14:15], v[22:23], -v[6:7]
	ds_read_b128 v[4:7], v3 offset:8176
	ds_read_b128 v[24:27], v43 offset:8192
	v_mul_f64 v[20:21], v[36:37], -v[30:31]
	v_mul_f64 v[22:23], v[36:37], v[28:29]
	v_fmac_f64_e32 v[20:21], v[28:29], v[38:39]
	v_fmac_f64_e32 v[22:23], v[30:31], v[38:39]
	s_waitcnt lgkmcnt(1)
	v_mul_f64 v[28:29], v[32:33], -v[6:7]
	v_add_f64 v[12:13], v[12:13], -v[20:21]
	v_add_f64 v[14:15], v[14:15], -v[22:23]
	ds_read_b128 v[20:23], v42
	v_fmac_f64_e32 v[28:29], v[4:5], v[34:35]
	v_mul_f64 v[4:5], v[32:33], v[4:5]
	v_fmac_f64_e32 v[4:5], v[6:7], v[34:35]
	v_add_f64 v[16:17], v[16:17], -v[28:29]
	v_add_f64 v[18:19], v[18:19], -v[4:5]
	ds_read_b128 v[4:7], v43 offset:4096
	s_waitcnt lgkmcnt(2)
	v_mul_f64 v[28:29], v[36:37], -v[26:27]
	v_fmac_f64_e32 v[28:29], v[24:25], v[38:39]
	v_mul_f64 v[24:25], v[36:37], v[24:25]
	v_fmac_f64_e32 v[24:25], v[26:27], v[38:39]
	v_add_f64 v[18:19], v[18:19], -v[24:25]
	s_waitcnt lgkmcnt(1)
	v_mul_f64 v[24:25], v[32:33], v[22:23]
	v_fma_f64 v[24:25], -v[20:21], v[34:35], v[24:25]
	v_mul_f64 v[20:21], v[32:33], -v[20:21]
	v_fma_f64 v[26:27], -v[22:23], v[34:35], v[20:21]
	s_waitcnt lgkmcnt(0)
	v_mul_f64 v[20:21], v[36:37], v[6:7]
	v_max_u32_e32 v3, 2, v0
	v_fma_f64 v[20:21], -v[4:5], v[38:39], v[20:21]
	v_mul_f64 v[4:5], v[36:37], -v[4:5]
	v_lshlrev_b32_e32 v3, 4, v3
	v_add_f64 v[16:17], v[16:17], -v[28:29]
	v_fma_f64 v[22:23], -v[6:7], v[38:39], v[4:5]
	s_barrier
	ds_write_b128 v11, v[12:15]
	ds_write_b128 v1, v[16:19] offset:8192
	ds_write_b128 v1, v[24:27]
	ds_write_b128 v10, v[20:23]
	s_waitcnt lgkmcnt(0)
	s_barrier
	ds_read_b128 v[4:7], v3 offset:2016
	v_add_u32_e32 v22, 2, v0
	v_cmp_gt_i32_e32 vcc, s8, v22
	v_cndmask_b32_e32 v26, v2, v22, vcc
	ds_read_b128 v[12:15], v3 offset:4064
	s_waitcnt lgkmcnt(1)
	v_mul_f64 v[20:21], v[6:7], v[6:7]
	v_fmac_f64_e32 v[20:21], v[4:5], v[4:5]
	v_div_scale_f64 v[16:17], s[4:5], v[20:21], v[20:21], 1.0
	v_rcp_f64_e32 v[18:19], v[16:17]
	v_lshlrev_b32_e32 v43, 4, v26
	v_subrev_u32_e32 v42, 32, v3
	v_fma_f64 v[22:23], -v[16:17], v[18:19], 1.0
	v_fmac_f64_e32 v[18:19], v[18:19], v[22:23]
	v_fma_f64 v[22:23], -v[16:17], v[18:19], 1.0
	v_fmac_f64_e32 v[18:19], v[18:19], v[22:23]
	v_div_scale_f64 v[22:23], vcc, 1.0, v[20:21], 1.0
	v_mul_f64 v[24:25], v[22:23], v[18:19]
	v_fma_f64 v[16:17], -v[16:17], v[24:25], v[22:23]
	s_nop 1
	v_div_fmas_f64 v[22:23], v[16:17], v[18:19], v[24:25]
	ds_read_b128 v[16:19], v1
	v_div_fixup_f64 v[32:33], v[22:23], v[20:21], 1.0
	ds_read_b128 v[20:23], v11
	ds_read_b128 v[24:27], v43 offset:2048
	s_waitcnt lgkmcnt(2)
	v_mul_f64 v[28:29], v[6:7], v[18:19]
	v_mul_f64 v[6:7], v[6:7], -v[16:17]
	s_waitcnt lgkmcnt(0)
	v_mul_f64 v[36:37], v[26:27], v[26:27]
	v_fmac_f64_e32 v[36:37], v[24:25], v[24:25]
	v_div_scale_f64 v[38:39], s[4:5], v[36:37], v[36:37], 1.0
	v_rcp_f64_e32 v[40:41], v[38:39]
	v_fmac_f64_e32 v[28:29], v[16:17], v[4:5]
	v_fmac_f64_e32 v[6:7], v[18:19], v[4:5]
	v_mul_f64 v[34:35], v[32:33], v[28:29]
	v_fma_f64 v[4:5], -v[38:39], v[40:41], 1.0
	v_fmac_f64_e32 v[40:41], v[40:41], v[4:5]
	v_fma_f64 v[4:5], -v[38:39], v[40:41], 1.0
	v_fmac_f64_e32 v[40:41], v[40:41], v[4:5]
	v_div_scale_f64 v[4:5], vcc, 1.0, v[36:37], 1.0
	v_mul_f64 v[16:17], v[4:5], v[40:41]
	ds_read_b128 v[28:31], v43
	v_mul_f64 v[32:33], v[32:33], v[6:7]
	v_fma_f64 v[18:19], -v[38:39], v[16:17], v[4:5]
	ds_read_b128 v[4:7], v10
	v_div_fmas_f64 v[16:17], v[18:19], v[40:41], v[16:17]
	v_div_fixup_f64 v[36:37], v[16:17], v[36:37], 1.0
	ds_read_b128 v[16:19], v1 offset:8192
	s_waitcnt lgkmcnt(1)
	v_mul_f64 v[38:39], v[26:27], v[6:7]
	v_fmac_f64_e32 v[38:39], v[4:5], v[24:25]
	v_mul_f64 v[4:5], v[26:27], -v[4:5]
	v_fmac_f64_e32 v[4:5], v[6:7], v[24:25]
	v_mul_f64 v[38:39], v[36:37], v[38:39]
	v_mul_f64 v[36:37], v[36:37], v[4:5]
	v_mul_f64 v[4:5], v[32:33], -v[14:15]
	v_mul_f64 v[6:7], v[32:33], v[12:13]
	v_fmac_f64_e32 v[4:5], v[12:13], v[34:35]
	v_fmac_f64_e32 v[6:7], v[14:15], v[34:35]
	v_add_f64 v[12:13], v[20:21], -v[4:5]
	v_add_f64 v[14:15], v[22:23], -v[6:7]
	ds_read_b128 v[4:7], v3 offset:8160
	ds_read_b128 v[24:27], v43 offset:8192
	v_mul_f64 v[20:21], v[36:37], -v[30:31]
	v_mul_f64 v[22:23], v[36:37], v[28:29]
	v_fmac_f64_e32 v[20:21], v[28:29], v[38:39]
	v_fmac_f64_e32 v[22:23], v[30:31], v[38:39]
	s_waitcnt lgkmcnt(1)
	v_mul_f64 v[28:29], v[32:33], -v[6:7]
	v_add_f64 v[12:13], v[12:13], -v[20:21]
	v_add_f64 v[14:15], v[14:15], -v[22:23]
	ds_read_b128 v[20:23], v42
	v_fmac_f64_e32 v[28:29], v[4:5], v[34:35]
	v_mul_f64 v[4:5], v[32:33], v[4:5]
	v_fmac_f64_e32 v[4:5], v[6:7], v[34:35]
	v_add_f64 v[16:17], v[16:17], -v[28:29]
	v_add_f64 v[18:19], v[18:19], -v[4:5]
	ds_read_b128 v[4:7], v43 offset:4096
	s_waitcnt lgkmcnt(2)
	v_mul_f64 v[28:29], v[36:37], -v[26:27]
	v_fmac_f64_e32 v[28:29], v[24:25], v[38:39]
	v_mul_f64 v[24:25], v[36:37], v[24:25]
	v_fmac_f64_e32 v[24:25], v[26:27], v[38:39]
	v_add_f64 v[18:19], v[18:19], -v[24:25]
	s_waitcnt lgkmcnt(1)
	v_mul_f64 v[24:25], v[32:33], v[22:23]
	v_fma_f64 v[24:25], -v[20:21], v[34:35], v[24:25]
	v_mul_f64 v[20:21], v[32:33], -v[20:21]
	v_fma_f64 v[26:27], -v[22:23], v[34:35], v[20:21]
	s_waitcnt lgkmcnt(0)
	v_mul_f64 v[20:21], v[36:37], v[6:7]
	v_max_u32_e32 v3, 4, v0
	v_fma_f64 v[20:21], -v[4:5], v[38:39], v[20:21]
	v_mul_f64 v[4:5], v[36:37], -v[4:5]
	v_lshlrev_b32_e32 v3, 4, v3
	v_add_f64 v[16:17], v[16:17], -v[28:29]
	v_fma_f64 v[22:23], -v[6:7], v[38:39], v[4:5]
	s_barrier
	ds_write_b128 v11, v[12:15]
	ds_write_b128 v1, v[16:19] offset:8192
	ds_write_b128 v1, v[24:27]
	ds_write_b128 v10, v[20:23]
	s_waitcnt lgkmcnt(0)
	s_barrier
	ds_read_b128 v[4:7], v3 offset:1984
	v_add_u32_e32 v22, 4, v0
	v_cmp_gt_i32_e32 vcc, s8, v22
	v_cndmask_b32_e32 v26, v2, v22, vcc
	ds_read_b128 v[12:15], v3 offset:4032
	s_waitcnt lgkmcnt(1)
	v_mul_f64 v[20:21], v[6:7], v[6:7]
	v_fmac_f64_e32 v[20:21], v[4:5], v[4:5]
	v_div_scale_f64 v[16:17], s[4:5], v[20:21], v[20:21], 1.0
	v_rcp_f64_e32 v[18:19], v[16:17]
	v_lshlrev_b32_e32 v43, 4, v26
	v_subrev_u32_e32 v42, 64, v3
	v_fma_f64 v[22:23], -v[16:17], v[18:19], 1.0
	v_fmac_f64_e32 v[18:19], v[18:19], v[22:23]
	v_fma_f64 v[22:23], -v[16:17], v[18:19], 1.0
	v_fmac_f64_e32 v[18:19], v[18:19], v[22:23]
	v_div_scale_f64 v[22:23], vcc, 1.0, v[20:21], 1.0
	v_mul_f64 v[24:25], v[22:23], v[18:19]
	v_fma_f64 v[16:17], -v[16:17], v[24:25], v[22:23]
	s_nop 1
	v_div_fmas_f64 v[22:23], v[16:17], v[18:19], v[24:25]
	ds_read_b128 v[16:19], v1
	v_div_fixup_f64 v[32:33], v[22:23], v[20:21], 1.0
	ds_read_b128 v[20:23], v11
	ds_read_b128 v[24:27], v43 offset:2048
	s_waitcnt lgkmcnt(2)
	v_mul_f64 v[28:29], v[6:7], v[18:19]
	v_mul_f64 v[6:7], v[6:7], -v[16:17]
	s_waitcnt lgkmcnt(0)
	v_mul_f64 v[36:37], v[26:27], v[26:27]
	v_fmac_f64_e32 v[36:37], v[24:25], v[24:25]
	v_div_scale_f64 v[38:39], s[4:5], v[36:37], v[36:37], 1.0
	v_rcp_f64_e32 v[40:41], v[38:39]
	v_fmac_f64_e32 v[28:29], v[16:17], v[4:5]
	v_fmac_f64_e32 v[6:7], v[18:19], v[4:5]
	v_mul_f64 v[34:35], v[32:33], v[28:29]
	v_fma_f64 v[4:5], -v[38:39], v[40:41], 1.0
	v_fmac_f64_e32 v[40:41], v[40:41], v[4:5]
	v_fma_f64 v[4:5], -v[38:39], v[40:41], 1.0
	v_fmac_f64_e32 v[40:41], v[40:41], v[4:5]
	v_div_scale_f64 v[4:5], vcc, 1.0, v[36:37], 1.0
	v_mul_f64 v[16:17], v[4:5], v[40:41]
	ds_read_b128 v[28:31], v43
	v_mul_f64 v[32:33], v[32:33], v[6:7]
	v_fma_f64 v[18:19], -v[38:39], v[16:17], v[4:5]
	ds_read_b128 v[4:7], v10
	v_div_fmas_f64 v[16:17], v[18:19], v[40:41], v[16:17]
	v_div_fixup_f64 v[36:37], v[16:17], v[36:37], 1.0
	ds_read_b128 v[16:19], v1 offset:8192
	s_waitcnt lgkmcnt(1)
	v_mul_f64 v[38:39], v[26:27], v[6:7]
	v_fmac_f64_e32 v[38:39], v[4:5], v[24:25]
	v_mul_f64 v[4:5], v[26:27], -v[4:5]
	v_fmac_f64_e32 v[4:5], v[6:7], v[24:25]
	v_mul_f64 v[38:39], v[36:37], v[38:39]
	v_mul_f64 v[36:37], v[36:37], v[4:5]
	v_mul_f64 v[4:5], v[32:33], -v[14:15]
	v_mul_f64 v[6:7], v[32:33], v[12:13]
	v_fmac_f64_e32 v[4:5], v[12:13], v[34:35]
	v_fmac_f64_e32 v[6:7], v[14:15], v[34:35]
	v_add_f64 v[12:13], v[20:21], -v[4:5]
	v_add_f64 v[14:15], v[22:23], -v[6:7]
	ds_read_b128 v[4:7], v3 offset:8128
	ds_read_b128 v[24:27], v43 offset:8192
	v_mul_f64 v[20:21], v[36:37], -v[30:31]
	v_mul_f64 v[22:23], v[36:37], v[28:29]
	v_fmac_f64_e32 v[20:21], v[28:29], v[38:39]
	v_fmac_f64_e32 v[22:23], v[30:31], v[38:39]
	s_waitcnt lgkmcnt(1)
	v_mul_f64 v[28:29], v[32:33], -v[6:7]
	v_add_f64 v[12:13], v[12:13], -v[20:21]
	v_add_f64 v[14:15], v[14:15], -v[22:23]
	ds_read_b128 v[20:23], v42
	v_fmac_f64_e32 v[28:29], v[4:5], v[34:35]
	v_mul_f64 v[4:5], v[32:33], v[4:5]
	v_fmac_f64_e32 v[4:5], v[6:7], v[34:35]
	v_add_f64 v[16:17], v[16:17], -v[28:29]
	v_add_f64 v[18:19], v[18:19], -v[4:5]
	ds_read_b128 v[4:7], v43 offset:4096
	s_waitcnt lgkmcnt(2)
	v_mul_f64 v[28:29], v[36:37], -v[26:27]
	v_fmac_f64_e32 v[28:29], v[24:25], v[38:39]
	v_mul_f64 v[24:25], v[36:37], v[24:25]
	v_fmac_f64_e32 v[24:25], v[26:27], v[38:39]
	v_add_f64 v[18:19], v[18:19], -v[24:25]
	s_waitcnt lgkmcnt(1)
	v_mul_f64 v[24:25], v[32:33], v[22:23]
	v_fma_f64 v[24:25], -v[20:21], v[34:35], v[24:25]
	v_mul_f64 v[20:21], v[32:33], -v[20:21]
	v_fma_f64 v[26:27], -v[22:23], v[34:35], v[20:21]
	s_waitcnt lgkmcnt(0)
	v_mul_f64 v[20:21], v[36:37], v[6:7]
	v_max_u32_e32 v3, 8, v0
	v_fma_f64 v[20:21], -v[4:5], v[38:39], v[20:21]
	v_mul_f64 v[4:5], v[36:37], -v[4:5]
	v_lshlrev_b32_e32 v3, 4, v3
	v_add_f64 v[16:17], v[16:17], -v[28:29]
	v_fma_f64 v[22:23], -v[6:7], v[38:39], v[4:5]
	s_barrier
	ds_write_b128 v11, v[12:15]
	ds_write_b128 v1, v[16:19] offset:8192
	ds_write_b128 v1, v[24:27]
	ds_write_b128 v10, v[20:23]
	s_waitcnt lgkmcnt(0)
	s_barrier
	ds_read_b128 v[4:7], v3 offset:1920
	v_add_u32_e32 v22, 8, v0
	v_cmp_gt_i32_e32 vcc, s8, v22
	v_cndmask_b32_e32 v26, v2, v22, vcc
	ds_read_b128 v[12:15], v3 offset:3968
	s_waitcnt lgkmcnt(1)
	v_mul_f64 v[20:21], v[6:7], v[6:7]
	v_fmac_f64_e32 v[20:21], v[4:5], v[4:5]
	v_div_scale_f64 v[16:17], s[4:5], v[20:21], v[20:21], 1.0
	v_rcp_f64_e32 v[18:19], v[16:17]
	v_lshlrev_b32_e32 v43, 4, v26
	v_add_u32_e32 v42, 0xffffff80, v3
	v_fma_f64 v[22:23], -v[16:17], v[18:19], 1.0
	v_fmac_f64_e32 v[18:19], v[18:19], v[22:23]
	v_fma_f64 v[22:23], -v[16:17], v[18:19], 1.0
	v_fmac_f64_e32 v[18:19], v[18:19], v[22:23]
	v_div_scale_f64 v[22:23], vcc, 1.0, v[20:21], 1.0
	v_mul_f64 v[24:25], v[22:23], v[18:19]
	v_fma_f64 v[16:17], -v[16:17], v[24:25], v[22:23]
	s_nop 1
	v_div_fmas_f64 v[22:23], v[16:17], v[18:19], v[24:25]
	ds_read_b128 v[16:19], v1
	v_div_fixup_f64 v[32:33], v[22:23], v[20:21], 1.0
	ds_read_b128 v[20:23], v11
	ds_read_b128 v[24:27], v43 offset:2048
	s_waitcnt lgkmcnt(2)
	v_mul_f64 v[28:29], v[6:7], v[18:19]
	v_mul_f64 v[6:7], v[6:7], -v[16:17]
	s_waitcnt lgkmcnt(0)
	v_mul_f64 v[36:37], v[26:27], v[26:27]
	v_fmac_f64_e32 v[36:37], v[24:25], v[24:25]
	v_div_scale_f64 v[38:39], s[4:5], v[36:37], v[36:37], 1.0
	v_rcp_f64_e32 v[40:41], v[38:39]
	v_fmac_f64_e32 v[28:29], v[16:17], v[4:5]
	v_fmac_f64_e32 v[6:7], v[18:19], v[4:5]
	v_mul_f64 v[34:35], v[32:33], v[28:29]
	v_fma_f64 v[4:5], -v[38:39], v[40:41], 1.0
	v_fmac_f64_e32 v[40:41], v[40:41], v[4:5]
	v_fma_f64 v[4:5], -v[38:39], v[40:41], 1.0
	v_fmac_f64_e32 v[40:41], v[40:41], v[4:5]
	v_div_scale_f64 v[4:5], vcc, 1.0, v[36:37], 1.0
	v_mul_f64 v[16:17], v[4:5], v[40:41]
	ds_read_b128 v[28:31], v43
	v_mul_f64 v[32:33], v[32:33], v[6:7]
	v_fma_f64 v[18:19], -v[38:39], v[16:17], v[4:5]
	ds_read_b128 v[4:7], v10
	v_div_fmas_f64 v[16:17], v[18:19], v[40:41], v[16:17]
	v_div_fixup_f64 v[36:37], v[16:17], v[36:37], 1.0
	ds_read_b128 v[16:19], v1 offset:8192
	s_waitcnt lgkmcnt(1)
	v_mul_f64 v[38:39], v[26:27], v[6:7]
	v_fmac_f64_e32 v[38:39], v[4:5], v[24:25]
	v_mul_f64 v[4:5], v[26:27], -v[4:5]
	v_fmac_f64_e32 v[4:5], v[6:7], v[24:25]
	v_mul_f64 v[38:39], v[36:37], v[38:39]
	v_mul_f64 v[36:37], v[36:37], v[4:5]
	v_mul_f64 v[4:5], v[32:33], -v[14:15]
	v_mul_f64 v[6:7], v[32:33], v[12:13]
	v_fmac_f64_e32 v[4:5], v[12:13], v[34:35]
	v_fmac_f64_e32 v[6:7], v[14:15], v[34:35]
	v_add_f64 v[12:13], v[20:21], -v[4:5]
	v_add_f64 v[14:15], v[22:23], -v[6:7]
	ds_read_b128 v[4:7], v3 offset:8064
	ds_read_b128 v[24:27], v43 offset:8192
	v_mul_f64 v[20:21], v[36:37], -v[30:31]
	v_mul_f64 v[22:23], v[36:37], v[28:29]
	v_fmac_f64_e32 v[20:21], v[28:29], v[38:39]
	v_fmac_f64_e32 v[22:23], v[30:31], v[38:39]
	s_waitcnt lgkmcnt(1)
	v_mul_f64 v[28:29], v[32:33], -v[6:7]
	v_add_f64 v[12:13], v[12:13], -v[20:21]
	v_add_f64 v[14:15], v[14:15], -v[22:23]
	ds_read_b128 v[20:23], v42
	v_fmac_f64_e32 v[28:29], v[4:5], v[34:35]
	v_mul_f64 v[4:5], v[32:33], v[4:5]
	v_fmac_f64_e32 v[4:5], v[6:7], v[34:35]
	v_add_f64 v[16:17], v[16:17], -v[28:29]
	v_add_f64 v[18:19], v[18:19], -v[4:5]
	ds_read_b128 v[4:7], v43 offset:4096
	s_waitcnt lgkmcnt(2)
	v_mul_f64 v[28:29], v[36:37], -v[26:27]
	v_fmac_f64_e32 v[28:29], v[24:25], v[38:39]
	v_mul_f64 v[24:25], v[36:37], v[24:25]
	v_fmac_f64_e32 v[24:25], v[26:27], v[38:39]
	v_add_f64 v[18:19], v[18:19], -v[24:25]
	s_waitcnt lgkmcnt(1)
	v_mul_f64 v[24:25], v[32:33], v[22:23]
	v_fma_f64 v[24:25], -v[20:21], v[34:35], v[24:25]
	v_mul_f64 v[20:21], v[32:33], -v[20:21]
	v_fma_f64 v[26:27], -v[22:23], v[34:35], v[20:21]
	s_waitcnt lgkmcnt(0)
	v_mul_f64 v[20:21], v[36:37], v[6:7]
	v_max_u32_e32 v3, 16, v0
	v_fma_f64 v[20:21], -v[4:5], v[38:39], v[20:21]
	v_mul_f64 v[4:5], v[36:37], -v[4:5]
	v_lshlrev_b32_e32 v3, 4, v3
	v_add_f64 v[16:17], v[16:17], -v[28:29]
	v_fma_f64 v[22:23], -v[6:7], v[38:39], v[4:5]
	s_barrier
	ds_write_b128 v11, v[12:15]
	ds_write_b128 v1, v[16:19] offset:8192
	ds_write_b128 v1, v[24:27]
	ds_write_b128 v10, v[20:23]
	s_waitcnt lgkmcnt(0)
	s_barrier
	ds_read_b128 v[4:7], v3 offset:1792
	v_add_u32_e32 v22, 16, v0
	v_cmp_gt_i32_e32 vcc, s8, v22
	v_cndmask_b32_e32 v26, v2, v22, vcc
	ds_read_b128 v[12:15], v3 offset:3840
	s_waitcnt lgkmcnt(1)
	v_mul_f64 v[20:21], v[6:7], v[6:7]
	v_fmac_f64_e32 v[20:21], v[4:5], v[4:5]
	v_div_scale_f64 v[16:17], s[4:5], v[20:21], v[20:21], 1.0
	v_rcp_f64_e32 v[18:19], v[16:17]
	v_lshlrev_b32_e32 v43, 4, v26
	v_add_u32_e32 v42, 0xffffff00, v3
	v_fma_f64 v[22:23], -v[16:17], v[18:19], 1.0
	v_fmac_f64_e32 v[18:19], v[18:19], v[22:23]
	v_fma_f64 v[22:23], -v[16:17], v[18:19], 1.0
	v_fmac_f64_e32 v[18:19], v[18:19], v[22:23]
	v_div_scale_f64 v[22:23], vcc, 1.0, v[20:21], 1.0
	v_mul_f64 v[24:25], v[22:23], v[18:19]
	v_fma_f64 v[16:17], -v[16:17], v[24:25], v[22:23]
	s_nop 1
	v_div_fmas_f64 v[22:23], v[16:17], v[18:19], v[24:25]
	ds_read_b128 v[16:19], v1
	v_div_fixup_f64 v[32:33], v[22:23], v[20:21], 1.0
	ds_read_b128 v[20:23], v11
	ds_read_b128 v[24:27], v43 offset:2048
	s_waitcnt lgkmcnt(2)
	v_mul_f64 v[28:29], v[6:7], v[18:19]
	v_mul_f64 v[6:7], v[6:7], -v[16:17]
	s_waitcnt lgkmcnt(0)
	v_mul_f64 v[36:37], v[26:27], v[26:27]
	v_fmac_f64_e32 v[36:37], v[24:25], v[24:25]
	v_div_scale_f64 v[38:39], s[4:5], v[36:37], v[36:37], 1.0
	v_rcp_f64_e32 v[40:41], v[38:39]
	v_fmac_f64_e32 v[28:29], v[16:17], v[4:5]
	v_fmac_f64_e32 v[6:7], v[18:19], v[4:5]
	v_mul_f64 v[34:35], v[32:33], v[28:29]
	v_fma_f64 v[4:5], -v[38:39], v[40:41], 1.0
	v_fmac_f64_e32 v[40:41], v[40:41], v[4:5]
	v_fma_f64 v[4:5], -v[38:39], v[40:41], 1.0
	v_fmac_f64_e32 v[40:41], v[40:41], v[4:5]
	v_div_scale_f64 v[4:5], vcc, 1.0, v[36:37], 1.0
	v_mul_f64 v[16:17], v[4:5], v[40:41]
	ds_read_b128 v[28:31], v43
	v_mul_f64 v[32:33], v[32:33], v[6:7]
	v_fma_f64 v[18:19], -v[38:39], v[16:17], v[4:5]
	ds_read_b128 v[4:7], v10
	v_div_fmas_f64 v[16:17], v[18:19], v[40:41], v[16:17]
	v_div_fixup_f64 v[36:37], v[16:17], v[36:37], 1.0
	ds_read_b128 v[16:19], v1 offset:8192
	s_waitcnt lgkmcnt(1)
	v_mul_f64 v[38:39], v[26:27], v[6:7]
	v_fmac_f64_e32 v[38:39], v[4:5], v[24:25]
	v_mul_f64 v[4:5], v[26:27], -v[4:5]
	v_fmac_f64_e32 v[4:5], v[6:7], v[24:25]
	v_mul_f64 v[38:39], v[36:37], v[38:39]
	v_mul_f64 v[36:37], v[36:37], v[4:5]
	v_mul_f64 v[4:5], v[32:33], -v[14:15]
	v_mul_f64 v[6:7], v[32:33], v[12:13]
	v_fmac_f64_e32 v[4:5], v[12:13], v[34:35]
	v_fmac_f64_e32 v[6:7], v[14:15], v[34:35]
	v_add_f64 v[12:13], v[20:21], -v[4:5]
	v_add_f64 v[14:15], v[22:23], -v[6:7]
	ds_read_b128 v[4:7], v3 offset:7936
	ds_read_b128 v[24:27], v43 offset:8192
	v_mul_f64 v[20:21], v[36:37], -v[30:31]
	v_mul_f64 v[22:23], v[36:37], v[28:29]
	v_fmac_f64_e32 v[20:21], v[28:29], v[38:39]
	v_fmac_f64_e32 v[22:23], v[30:31], v[38:39]
	s_waitcnt lgkmcnt(1)
	v_mul_f64 v[28:29], v[32:33], -v[6:7]
	v_add_f64 v[12:13], v[12:13], -v[20:21]
	v_add_f64 v[14:15], v[14:15], -v[22:23]
	ds_read_b128 v[20:23], v42
	v_fmac_f64_e32 v[28:29], v[4:5], v[34:35]
	v_mul_f64 v[4:5], v[32:33], v[4:5]
	v_fmac_f64_e32 v[4:5], v[6:7], v[34:35]
	v_add_f64 v[16:17], v[16:17], -v[28:29]
	v_add_f64 v[18:19], v[18:19], -v[4:5]
	ds_read_b128 v[4:7], v43 offset:4096
	s_waitcnt lgkmcnt(2)
	v_mul_f64 v[28:29], v[36:37], -v[26:27]
	v_fmac_f64_e32 v[28:29], v[24:25], v[38:39]
	v_mul_f64 v[24:25], v[36:37], v[24:25]
	v_fmac_f64_e32 v[24:25], v[26:27], v[38:39]
	v_add_f64 v[18:19], v[18:19], -v[24:25]
	s_waitcnt lgkmcnt(1)
	v_mul_f64 v[24:25], v[32:33], v[22:23]
	v_fma_f64 v[24:25], -v[20:21], v[34:35], v[24:25]
	v_mul_f64 v[20:21], v[32:33], -v[20:21]
	v_fma_f64 v[26:27], -v[22:23], v[34:35], v[20:21]
	s_waitcnt lgkmcnt(0)
	v_mul_f64 v[20:21], v[36:37], v[6:7]
	v_max_u32_e32 v3, 32, v0
	v_fma_f64 v[20:21], -v[4:5], v[38:39], v[20:21]
	v_mul_f64 v[4:5], v[36:37], -v[4:5]
	v_lshlrev_b32_e32 v40, 4, v3
	v_add_f64 v[16:17], v[16:17], -v[28:29]
	v_fma_f64 v[22:23], -v[6:7], v[38:39], v[4:5]
	s_barrier
	ds_write_b128 v11, v[12:15]
	ds_write_b128 v1, v[16:19] offset:8192
	ds_write_b128 v1, v[24:27]
	ds_write_b128 v10, v[20:23]
	s_waitcnt lgkmcnt(0)
	s_barrier
	ds_read_b128 v[4:7], v40 offset:1536
	v_add_u32_e32 v3, 32, v0
	v_cmp_gt_i32_e32 vcc, s8, v3
	v_cndmask_b32_e32 v24, v2, v3, vcc
	ds_read_b128 v[12:15], v40 offset:3584
	s_waitcnt lgkmcnt(1)
	v_mul_f64 v[20:21], v[6:7], v[6:7]
	v_fmac_f64_e32 v[20:21], v[4:5], v[4:5]
	v_div_scale_f64 v[16:17], s[4:5], v[20:21], v[20:21], 1.0
	v_rcp_f64_e32 v[18:19], v[16:17]
	v_lshlrev_b32_e32 v42, 4, v24
	v_add_u32_e32 v41, 0xfffffe00, v40
	v_fma_f64 v[2:3], -v[16:17], v[18:19], 1.0
	v_fmac_f64_e32 v[18:19], v[18:19], v[2:3]
	v_fma_f64 v[2:3], -v[16:17], v[18:19], 1.0
	v_fmac_f64_e32 v[18:19], v[18:19], v[2:3]
	v_div_scale_f64 v[2:3], vcc, 1.0, v[20:21], 1.0
	v_mul_f64 v[22:23], v[2:3], v[18:19]
	v_fma_f64 v[2:3], -v[16:17], v[22:23], v[2:3]
	s_nop 1
	v_div_fmas_f64 v[2:3], v[2:3], v[18:19], v[22:23]
	ds_read_b128 v[16:19], v1
	v_div_fixup_f64 v[2:3], v[2:3], v[20:21], 1.0
	ds_read_b128 v[20:23], v11
	ds_read_b128 v[24:27], v42 offset:2048
	s_waitcnt lgkmcnt(2)
	v_mul_f64 v[28:29], v[6:7], v[18:19]
	v_mul_f64 v[6:7], v[6:7], -v[16:17]
	s_waitcnt lgkmcnt(0)
	v_mul_f64 v[34:35], v[26:27], v[26:27]
	v_fmac_f64_e32 v[34:35], v[24:25], v[24:25]
	v_div_scale_f64 v[36:37], s[4:5], v[34:35], v[34:35], 1.0
	v_rcp_f64_e32 v[38:39], v[36:37]
	v_fmac_f64_e32 v[28:29], v[16:17], v[4:5]
	v_fmac_f64_e32 v[6:7], v[18:19], v[4:5]
	v_mul_f64 v[32:33], v[2:3], v[28:29]
	v_mul_f64 v[6:7], v[2:3], v[6:7]
	v_fma_f64 v[2:3], -v[36:37], v[38:39], 1.0
	v_fmac_f64_e32 v[38:39], v[38:39], v[2:3]
	v_fma_f64 v[2:3], -v[36:37], v[38:39], 1.0
	v_fmac_f64_e32 v[38:39], v[38:39], v[2:3]
	v_div_scale_f64 v[2:3], vcc, 1.0, v[34:35], 1.0
	v_mul_f64 v[16:17], v[2:3], v[38:39]
	v_fma_f64 v[18:19], -v[36:37], v[16:17], v[2:3]
	ds_read_b128 v[2:5], v10
	s_nop 0
	v_div_fmas_f64 v[16:17], v[18:19], v[38:39], v[16:17]
	v_div_fixup_f64 v[34:35], v[16:17], v[34:35], 1.0
	ds_read_b128 v[16:19], v1 offset:8192
	ds_read_b128 v[28:31], v42
	s_waitcnt lgkmcnt(2)
	v_mul_f64 v[36:37], v[26:27], v[4:5]
	v_fmac_f64_e32 v[36:37], v[2:3], v[24:25]
	v_mul_f64 v[2:3], v[26:27], -v[2:3]
	v_fmac_f64_e32 v[2:3], v[4:5], v[24:25]
	ds_read_b128 v[24:27], v42 offset:8192
	v_mul_f64 v[36:37], v[34:35], v[36:37]
	v_mul_f64 v[34:35], v[34:35], v[2:3]
	v_mul_f64 v[2:3], v[6:7], -v[14:15]
	v_mul_f64 v[4:5], v[6:7], v[12:13]
	v_fmac_f64_e32 v[2:3], v[12:13], v[32:33]
	v_fmac_f64_e32 v[4:5], v[14:15], v[32:33]
	v_add_f64 v[12:13], v[20:21], -v[2:3]
	v_add_f64 v[14:15], v[22:23], -v[4:5]
	ds_read_b128 v[2:5], v40 offset:7680
	s_waitcnt lgkmcnt(2)
	v_mul_f64 v[20:21], v[34:35], -v[30:31]
	v_mul_f64 v[22:23], v[34:35], v[28:29]
	v_fmac_f64_e32 v[20:21], v[28:29], v[36:37]
	v_fmac_f64_e32 v[22:23], v[30:31], v[36:37]
	v_add_f64 v[12:13], v[12:13], -v[20:21]
	v_add_f64 v[14:15], v[14:15], -v[22:23]
	ds_read_b128 v[20:23], v41
	s_waitcnt lgkmcnt(1)
	v_mul_f64 v[28:29], v[6:7], -v[4:5]
	v_fmac_f64_e32 v[28:29], v[2:3], v[32:33]
	v_mul_f64 v[2:3], v[6:7], v[2:3]
	v_fmac_f64_e32 v[2:3], v[4:5], v[32:33]
	v_add_f64 v[18:19], v[18:19], -v[2:3]
	ds_read_b128 v[2:5], v42 offset:4096
	v_add_f64 v[16:17], v[16:17], -v[28:29]
	v_mul_f64 v[28:29], v[34:35], -v[26:27]
	v_fmac_f64_e32 v[28:29], v[24:25], v[36:37]
	v_mul_f64 v[24:25], v[34:35], v[24:25]
	v_fmac_f64_e32 v[24:25], v[26:27], v[36:37]
	v_add_f64 v[18:19], v[18:19], -v[24:25]
	s_waitcnt lgkmcnt(1)
	v_mul_f64 v[24:25], v[6:7], v[22:23]
	v_mul_f64 v[6:7], v[6:7], -v[20:21]
	v_fma_f64 v[26:27], -v[22:23], v[32:33], v[6:7]
	s_waitcnt lgkmcnt(0)
	v_mul_f64 v[6:7], v[34:35], v[4:5]
	v_fma_f64 v[24:25], -v[20:21], v[32:33], v[24:25]
	v_fma_f64 v[20:21], -v[2:3], v[36:37], v[6:7]
	v_mul_f64 v[2:3], v[34:35], -v[2:3]
	v_cmp_gt_u32_e32 vcc, 64, v0
	v_add_f64 v[16:17], v[16:17], -v[28:29]
	v_fma_f64 v[22:23], -v[4:5], v[36:37], v[2:3]
	s_barrier
	ds_write_b128 v11, v[12:15]
	ds_write_b128 v1, v[16:19] offset:8192
	ds_write_b128 v1, v[24:27]
	ds_write_b128 v10, v[20:23]
	s_waitcnt lgkmcnt(0)
	s_barrier
	s_and_saveexec_b64 s[4:5], vcc
	s_cbranch_execz .LBB77_14
; %bb.9:
	v_or_b32_e32 v6, 64, v0
	v_or_b32_e32 v7, 0x2000, v1
	v_cmp_le_i32_e32 vcc, s8, v6
                                        ; implicit-def: $vgpr4_vgpr5
	s_and_saveexec_b64 s[6:7], vcc
	s_xor_b64 s[6:7], exec, s[6:7]
	s_cbranch_execz .LBB77_11
; %bb.10:
	ds_read_b128 v[10:13], v11
	ds_read_b128 v[4:7], v7
                                        ; implicit-def: $vgpr1
	s_waitcnt lgkmcnt(1)
	v_mul_f64 v[2:3], v[12:13], v[12:13]
	v_fmac_f64_e32 v[2:3], v[10:11], v[10:11]
	v_div_scale_f64 v[16:17], s[8:9], v[2:3], v[2:3], 1.0
	v_rcp_f64_e32 v[18:19], v[16:17]
	v_div_scale_f64 v[20:21], vcc, 1.0, v[2:3], 1.0
	s_waitcnt lgkmcnt(0)
	v_mul_f64 v[14:15], v[12:13], v[6:7]
	v_fma_f64 v[22:23], -v[16:17], v[18:19], 1.0
	v_fmac_f64_e32 v[18:19], v[18:19], v[22:23]
	v_fma_f64 v[22:23], -v[16:17], v[18:19], 1.0
	v_fmac_f64_e32 v[18:19], v[18:19], v[22:23]
	v_mul_f64 v[22:23], v[20:21], v[18:19]
	v_fma_f64 v[16:17], -v[16:17], v[22:23], v[20:21]
	v_fmac_f64_e32 v[14:15], v[4:5], v[10:11]
	v_div_fmas_f64 v[16:17], v[16:17], v[18:19], v[22:23]
	v_mul_f64 v[4:5], v[12:13], -v[4:5]
	v_div_fixup_f64 v[16:17], v[16:17], v[2:3], 1.0
	v_fmac_f64_e32 v[4:5], v[6:7], v[10:11]
	v_mul_f64 v[2:3], v[16:17], v[14:15]
	v_mul_f64 v[4:5], v[16:17], v[4:5]
	v_mov_b32_e32 v6, v0
                                        ; implicit-def: $vgpr11
                                        ; implicit-def: $vgpr10
                                        ; implicit-def: $vgpr7
.LBB77_11:
	s_andn2_saveexec_b64 s[6:7], s[6:7]
	s_cbranch_execz .LBB77_13
; %bb.12:
	ds_read_b128 v[2:5], v11
	ds_read_b128 v[12:15], v11 offset:1024
	ds_read_b128 v[16:19], v1 offset:1024
	ds_read_b128 v[20:23], v10
	s_waitcnt lgkmcnt(2)
	v_mul_f64 v[24:25], v[4:5], v[12:13]
	v_mul_f64 v[10:11], v[4:5], -v[14:15]
	s_waitcnt lgkmcnt(0)
	v_mul_f64 v[28:29], v[18:19], v[20:21]
	v_fmac_f64_e32 v[24:25], v[14:15], v[2:3]
	v_mul_f64 v[26:27], v[18:19], -v[22:23]
	v_fmac_f64_e32 v[28:29], v[22:23], v[16:17]
	v_fmac_f64_e32 v[10:11], v[12:13], v[2:3]
	;; [unrolled: 1-line block ×3, first 2 shown]
	v_add_f64 v[28:29], v[24:25], -v[28:29]
	v_add_f64 v[10:11], v[10:11], -v[26:27]
	v_mul_f64 v[24:25], v[28:29], v[28:29]
	v_fmac_f64_e32 v[24:25], v[10:11], v[10:11]
	v_div_scale_f64 v[26:27], s[8:9], v[24:25], v[24:25], 1.0
	v_rcp_f64_e32 v[30:31], v[26:27]
	v_fma_f64 v[32:33], -v[26:27], v[30:31], 1.0
	v_fmac_f64_e32 v[30:31], v[30:31], v[32:33]
	v_fma_f64 v[32:33], -v[26:27], v[30:31], 1.0
	v_fmac_f64_e32 v[30:31], v[30:31], v[32:33]
	v_div_scale_f64 v[32:33], vcc, 1.0, v[24:25], 1.0
	v_mul_f64 v[34:35], v[32:33], v[30:31]
	v_fma_f64 v[26:27], -v[26:27], v[34:35], v[32:33]
	v_fma_f64 v[32:33], 0, v[28:29], v[10:11]
	s_nop 0
	v_div_fmas_f64 v[26:27], v[26:27], v[30:31], v[34:35]
	v_div_fixup_f64 v[30:31], v[26:27], v[24:25], 1.0
	ds_read_b128 v[24:27], v7
	v_fma_f64 v[10:11], v[10:11], 0, -v[28:29]
	v_mul_f64 v[32:33], v[32:33], v[30:31]
	v_mul_f64 v[34:35], v[10:11], v[30:31]
	ds_read_b128 v[28:31], v7 offset:1024
	s_waitcnt lgkmcnt(1)
	v_mul_f64 v[10:11], v[26:27], -v[14:15]
	v_fmac_f64_e32 v[10:11], v[12:13], v[24:25]
	v_mul_f64 v[12:13], v[12:13], v[26:27]
	v_fmac_f64_e32 v[12:13], v[14:15], v[24:25]
	s_waitcnt lgkmcnt(0)
	v_mul_f64 v[14:15], v[30:31], -v[22:23]
	v_fmac_f64_e32 v[14:15], v[20:21], v[28:29]
	v_mul_f64 v[20:21], v[20:21], v[30:31]
	v_fmac_f64_e32 v[20:21], v[22:23], v[28:29]
	v_add_f64 v[14:15], v[10:11], -v[14:15]
	v_add_f64 v[20:21], v[12:13], -v[20:21]
	v_mul_f64 v[10:11], v[34:35], -v[20:21]
	v_mul_f64 v[12:13], v[34:35], v[14:15]
	v_fmac_f64_e32 v[10:11], v[14:15], v[32:33]
	v_fmac_f64_e32 v[12:13], v[20:21], v[32:33]
	ds_write_b128 v1, v[10:13] offset:6144
	v_mul_f64 v[10:11], v[4:5], -v[30:31]
	v_mul_f64 v[4:5], v[4:5], v[28:29]
	v_fmac_f64_e32 v[10:11], v[28:29], v[2:3]
	v_fmac_f64_e32 v[4:5], v[30:31], v[2:3]
	v_mul_f64 v[2:3], v[18:19], -v[26:27]
	v_mul_f64 v[12:13], v[18:19], v[24:25]
	v_fmac_f64_e32 v[2:3], v[24:25], v[16:17]
	v_fmac_f64_e32 v[12:13], v[26:27], v[16:17]
	v_add_f64 v[10:11], v[10:11], -v[2:3]
	v_add_f64 v[12:13], v[4:5], -v[12:13]
	v_mul_f64 v[2:3], v[34:35], -v[12:13]
	v_mul_f64 v[4:5], v[34:35], v[10:11]
	v_fmac_f64_e32 v[2:3], v[10:11], v[32:33]
	v_fmac_f64_e32 v[4:5], v[12:13], v[32:33]
.LBB77_13:
	s_or_b64 exec, exec, s[6:7]
	v_lshlrev_b32_e32 v1, 4, v6
	ds_write_b128 v1, v[2:5] offset:6144
.LBB77_14:
	s_or_b64 exec, exec, s[4:5]
	s_waitcnt lgkmcnt(0)
	s_barrier
	s_and_saveexec_b64 s[4:5], s[0:1]
	s_cbranch_execz .LBB77_16
; %bb.15:
	v_mov_b32_e32 v1, 0x1800
	v_lshl_or_b32 v0, v0, 4, v1
	ds_read2_b64 v[0:3], v0 offset1:1
	v_lshlrev_b64 v[4:5], 4, v[8:9]
	v_mov_b32_e32 v6, s3
	v_add_co_u32_e32 v4, vcc, s2, v4
	v_addc_co_u32_e32 v5, vcc, v6, v5, vcc
	s_waitcnt lgkmcnt(0)
	global_store_dwordx4 v[4:5], v[0:3], off
.LBB77_16:
	s_endpgm
	.section	.rodata,"a",@progbits
	.p2align	6, 0x0
	.amdhsa_kernel _ZN9rocsparseL44gtsv_nopivot_strided_batch_pcr_shared_kernelILj128E21rocsparse_complex_numIdEEEviiiPKT0_S5_S5_PS3_
		.amdhsa_group_segment_fixed_size 10240
		.amdhsa_private_segment_fixed_size 0
		.amdhsa_kernarg_size 48
		.amdhsa_user_sgpr_count 6
		.amdhsa_user_sgpr_private_segment_buffer 1
		.amdhsa_user_sgpr_dispatch_ptr 0
		.amdhsa_user_sgpr_queue_ptr 0
		.amdhsa_user_sgpr_kernarg_segment_ptr 1
		.amdhsa_user_sgpr_dispatch_id 0
		.amdhsa_user_sgpr_flat_scratch_init 0
		.amdhsa_user_sgpr_kernarg_preload_length 0
		.amdhsa_user_sgpr_kernarg_preload_offset 0
		.amdhsa_user_sgpr_private_segment_size 0
		.amdhsa_uses_dynamic_stack 0
		.amdhsa_system_sgpr_private_segment_wavefront_offset 0
		.amdhsa_system_sgpr_workgroup_id_x 1
		.amdhsa_system_sgpr_workgroup_id_y 0
		.amdhsa_system_sgpr_workgroup_id_z 0
		.amdhsa_system_sgpr_workgroup_info 0
		.amdhsa_system_vgpr_workitem_id 0
		.amdhsa_next_free_vgpr 44
		.amdhsa_next_free_sgpr 10
		.amdhsa_accum_offset 44
		.amdhsa_reserve_vcc 1
		.amdhsa_reserve_flat_scratch 0
		.amdhsa_float_round_mode_32 0
		.amdhsa_float_round_mode_16_64 0
		.amdhsa_float_denorm_mode_32 3
		.amdhsa_float_denorm_mode_16_64 3
		.amdhsa_dx10_clamp 1
		.amdhsa_ieee_mode 1
		.amdhsa_fp16_overflow 0
		.amdhsa_tg_split 0
		.amdhsa_exception_fp_ieee_invalid_op 0
		.amdhsa_exception_fp_denorm_src 0
		.amdhsa_exception_fp_ieee_div_zero 0
		.amdhsa_exception_fp_ieee_overflow 0
		.amdhsa_exception_fp_ieee_underflow 0
		.amdhsa_exception_fp_ieee_inexact 0
		.amdhsa_exception_int_div_zero 0
	.end_amdhsa_kernel
	.section	.text._ZN9rocsparseL44gtsv_nopivot_strided_batch_pcr_shared_kernelILj128E21rocsparse_complex_numIdEEEviiiPKT0_S5_S5_PS3_,"axG",@progbits,_ZN9rocsparseL44gtsv_nopivot_strided_batch_pcr_shared_kernelILj128E21rocsparse_complex_numIdEEEviiiPKT0_S5_S5_PS3_,comdat
.Lfunc_end77:
	.size	_ZN9rocsparseL44gtsv_nopivot_strided_batch_pcr_shared_kernelILj128E21rocsparse_complex_numIdEEEviiiPKT0_S5_S5_PS3_, .Lfunc_end77-_ZN9rocsparseL44gtsv_nopivot_strided_batch_pcr_shared_kernelILj128E21rocsparse_complex_numIdEEEviiiPKT0_S5_S5_PS3_
                                        ; -- End function
	.section	.AMDGPU.csdata,"",@progbits
; Kernel info:
; codeLenInByte = 5252
; NumSgprs: 14
; NumVgprs: 44
; NumAgprs: 0
; TotalNumVgprs: 44
; ScratchSize: 0
; MemoryBound: 1
; FloatMode: 240
; IeeeMode: 1
; LDSByteSize: 10240 bytes/workgroup (compile time only)
; SGPRBlocks: 1
; VGPRBlocks: 5
; NumSGPRsForWavesPerEU: 14
; NumVGPRsForWavesPerEU: 44
; AccumOffset: 44
; Occupancy: 3
; WaveLimiterHint : 0
; COMPUTE_PGM_RSRC2:SCRATCH_EN: 0
; COMPUTE_PGM_RSRC2:USER_SGPR: 6
; COMPUTE_PGM_RSRC2:TRAP_HANDLER: 0
; COMPUTE_PGM_RSRC2:TGID_X_EN: 1
; COMPUTE_PGM_RSRC2:TGID_Y_EN: 0
; COMPUTE_PGM_RSRC2:TGID_Z_EN: 0
; COMPUTE_PGM_RSRC2:TIDIG_COMP_CNT: 0
; COMPUTE_PGM_RSRC3_GFX90A:ACCUM_OFFSET: 10
; COMPUTE_PGM_RSRC3_GFX90A:TG_SPLIT: 0
	.section	.text._ZN9rocsparseL44gtsv_nopivot_strided_batch_pcr_shared_kernelILj256E21rocsparse_complex_numIdEEEviiiPKT0_S5_S5_PS3_,"axG",@progbits,_ZN9rocsparseL44gtsv_nopivot_strided_batch_pcr_shared_kernelILj256E21rocsparse_complex_numIdEEEviiiPKT0_S5_S5_PS3_,comdat
	.globl	_ZN9rocsparseL44gtsv_nopivot_strided_batch_pcr_shared_kernelILj256E21rocsparse_complex_numIdEEEviiiPKT0_S5_S5_PS3_ ; -- Begin function _ZN9rocsparseL44gtsv_nopivot_strided_batch_pcr_shared_kernelILj256E21rocsparse_complex_numIdEEEviiiPKT0_S5_S5_PS3_
	.p2align	8
	.type	_ZN9rocsparseL44gtsv_nopivot_strided_batch_pcr_shared_kernelILj256E21rocsparse_complex_numIdEEEviiiPKT0_S5_S5_PS3_,@function
_ZN9rocsparseL44gtsv_nopivot_strided_batch_pcr_shared_kernelILj256E21rocsparse_complex_numIdEEEviiiPKT0_S5_S5_PS3_: ; @_ZN9rocsparseL44gtsv_nopivot_strided_batch_pcr_shared_kernelILj256E21rocsparse_complex_numIdEEEviiiPKT0_S5_S5_PS3_
; %bb.0:
	s_load_dword s0, s[4:5], 0x8
	s_load_dword s8, s[4:5], 0x0
	v_pk_mov_b32 v[2:3], 0, 0
	v_pk_mov_b32 v[4:5], v[2:3], v[2:3] op_sel:[0,1]
	v_pk_mov_b32 v[6:7], v[2:3], v[2:3] op_sel:[0,1]
	s_waitcnt lgkmcnt(0)
	s_mul_i32 s6, s6, s0
	v_add_u32_e32 v8, s6, v0
	v_cmp_gt_i32_e64 s[0:1], s8, v0
	v_ashrrev_i32_e32 v9, 31, v8
	s_and_saveexec_b64 s[2:3], s[0:1]
	s_cbranch_execz .LBB78_2
; %bb.1:
	s_load_dwordx2 s[6:7], s[4:5], 0x10
	v_lshlrev_b64 v[4:5], 4, v[8:9]
	s_waitcnt lgkmcnt(0)
	v_mov_b32_e32 v1, s7
	v_add_co_u32_e32 v4, vcc, s6, v4
	v_addc_co_u32_e32 v5, vcc, v1, v5, vcc
	global_load_dwordx4 v[4:7], v[4:5], off
.LBB78_2:
	s_or_b64 exec, exec, s[2:3]
	v_lshlrev_b32_e32 v1, 4, v0
	s_waitcnt vmcnt(0)
	ds_write_b128 v1, v[4:7]
	v_pk_mov_b32 v[4:5], v[2:3], v[2:3] op_sel:[0,1]
	s_and_saveexec_b64 s[2:3], s[0:1]
	s_cbranch_execz .LBB78_4
; %bb.3:
	s_load_dwordx2 s[6:7], s[4:5], 0x18
	v_lshlrev_b64 v[2:3], 4, v[8:9]
	s_waitcnt lgkmcnt(0)
	v_mov_b32_e32 v4, s7
	v_add_co_u32_e32 v2, vcc, s6, v2
	v_addc_co_u32_e32 v3, vcc, v4, v3, vcc
	global_load_dwordx4 v[2:5], v[2:3], off
.LBB78_4:
	s_or_b64 exec, exec, s[2:3]
	s_load_dwordx2 s[2:3], s[4:5], 0x28
	s_waitcnt vmcnt(0)
	ds_write_b128 v1, v[2:5] offset:4096
	v_pk_mov_b32 v[2:3], 0, 0
	v_pk_mov_b32 v[4:5], v[2:3], v[2:3] op_sel:[0,1]
	v_pk_mov_b32 v[6:7], v[2:3], v[2:3] op_sel:[0,1]
	s_and_saveexec_b64 s[6:7], s[0:1]
	s_cbranch_execz .LBB78_6
; %bb.5:
	s_load_dwordx2 s[4:5], s[4:5], 0x20
	v_lshlrev_b64 v[4:5], 4, v[8:9]
	s_waitcnt lgkmcnt(0)
	v_mov_b32_e32 v6, s5
	v_add_co_u32_e32 v4, vcc, s4, v4
	v_addc_co_u32_e32 v5, vcc, v6, v5, vcc
	global_load_dwordx4 v[4:7], v[4:5], off
.LBB78_6:
	s_or_b64 exec, exec, s[6:7]
	v_or_b32_e32 v11, 0x1000, v1
	v_or_b32_e32 v10, 0x2000, v1
	s_waitcnt vmcnt(0)
	ds_write_b128 v1, v[4:7] offset:8192
	v_pk_mov_b32 v[4:5], v[2:3], v[2:3] op_sel:[0,1]
	s_and_saveexec_b64 s[4:5], s[0:1]
	s_cbranch_execz .LBB78_8
; %bb.7:
	v_lshlrev_b64 v[2:3], 4, v[8:9]
	s_waitcnt lgkmcnt(0)
	v_mov_b32_e32 v4, s3
	v_add_co_u32_e32 v2, vcc, s2, v2
	v_addc_co_u32_e32 v3, vcc, v4, v3, vcc
	global_load_dwordx4 v[2:5], v[2:3], off
.LBB78_8:
	s_or_b64 exec, exec, s[4:5]
	s_waitcnt vmcnt(0)
	ds_write_b128 v1, v[2:5] offset:16384
	v_max_u32_e32 v2, 1, v0
	v_lshlrev_b32_e32 v3, 4, v2
	s_waitcnt lgkmcnt(0)
	s_barrier
	ds_read_b128 v[4:7], v3 offset:4080
	s_add_i32 s4, s8, -1
	v_mov_b32_e32 v2, s4
	v_add_u32_e32 v22, 1, v0
	v_cmp_gt_i32_e32 vcc, s8, v22
	s_waitcnt lgkmcnt(0)
	v_mul_f64 v[20:21], v[6:7], v[6:7]
	v_fmac_f64_e32 v[20:21], v[4:5], v[4:5]
	v_div_scale_f64 v[16:17], s[4:5], v[20:21], v[20:21], 1.0
	v_rcp_f64_e32 v[18:19], v[16:17]
	v_cndmask_b32_e32 v26, v2, v22, vcc
	ds_read_b128 v[12:15], v3 offset:8176
	v_lshlrev_b32_e32 v43, 4, v26
	v_fma_f64 v[22:23], -v[16:17], v[18:19], 1.0
	v_fmac_f64_e32 v[18:19], v[18:19], v[22:23]
	v_fma_f64 v[22:23], -v[16:17], v[18:19], 1.0
	v_fmac_f64_e32 v[18:19], v[18:19], v[22:23]
	v_div_scale_f64 v[22:23], vcc, 1.0, v[20:21], 1.0
	v_mul_f64 v[24:25], v[22:23], v[18:19]
	v_fma_f64 v[16:17], -v[16:17], v[24:25], v[22:23]
	v_add_u32_e32 v42, -16, v3
	s_nop 0
	v_div_fmas_f64 v[22:23], v[16:17], v[18:19], v[24:25]
	ds_read_b128 v[16:19], v1
	v_div_fixup_f64 v[32:33], v[22:23], v[20:21], 1.0
	ds_read_b128 v[20:23], v11
	ds_read_b128 v[24:27], v43 offset:4096
	s_waitcnt lgkmcnt(2)
	v_mul_f64 v[28:29], v[6:7], v[18:19]
	v_mul_f64 v[6:7], v[6:7], -v[16:17]
	s_waitcnt lgkmcnt(0)
	v_mul_f64 v[36:37], v[26:27], v[26:27]
	v_fmac_f64_e32 v[36:37], v[24:25], v[24:25]
	v_div_scale_f64 v[38:39], s[4:5], v[36:37], v[36:37], 1.0
	v_rcp_f64_e32 v[40:41], v[38:39]
	v_fmac_f64_e32 v[28:29], v[16:17], v[4:5]
	v_fmac_f64_e32 v[6:7], v[18:19], v[4:5]
	v_mul_f64 v[34:35], v[32:33], v[28:29]
	v_fma_f64 v[4:5], -v[38:39], v[40:41], 1.0
	v_fmac_f64_e32 v[40:41], v[40:41], v[4:5]
	v_fma_f64 v[4:5], -v[38:39], v[40:41], 1.0
	v_fmac_f64_e32 v[40:41], v[40:41], v[4:5]
	v_div_scale_f64 v[4:5], vcc, 1.0, v[36:37], 1.0
	v_mul_f64 v[16:17], v[4:5], v[40:41]
	ds_read_b128 v[28:31], v43
	v_mul_f64 v[32:33], v[32:33], v[6:7]
	v_fma_f64 v[18:19], -v[38:39], v[16:17], v[4:5]
	ds_read_b128 v[4:7], v10
	v_div_fmas_f64 v[16:17], v[18:19], v[40:41], v[16:17]
	v_div_fixup_f64 v[36:37], v[16:17], v[36:37], 1.0
	ds_read_b128 v[16:19], v1 offset:16384
	s_waitcnt lgkmcnt(1)
	v_mul_f64 v[38:39], v[26:27], v[6:7]
	v_fmac_f64_e32 v[38:39], v[4:5], v[24:25]
	v_mul_f64 v[4:5], v[26:27], -v[4:5]
	v_fmac_f64_e32 v[4:5], v[6:7], v[24:25]
	v_mul_f64 v[38:39], v[36:37], v[38:39]
	v_mul_f64 v[36:37], v[36:37], v[4:5]
	v_mul_f64 v[4:5], v[32:33], -v[14:15]
	v_mul_f64 v[6:7], v[32:33], v[12:13]
	v_fmac_f64_e32 v[4:5], v[12:13], v[34:35]
	v_fmac_f64_e32 v[6:7], v[14:15], v[34:35]
	v_add_f64 v[12:13], v[20:21], -v[4:5]
	v_add_f64 v[14:15], v[22:23], -v[6:7]
	ds_read_b128 v[4:7], v3 offset:16368
	ds_read_b128 v[24:27], v43 offset:16384
	v_mul_f64 v[20:21], v[36:37], -v[30:31]
	v_mul_f64 v[22:23], v[36:37], v[28:29]
	v_fmac_f64_e32 v[20:21], v[28:29], v[38:39]
	v_fmac_f64_e32 v[22:23], v[30:31], v[38:39]
	s_waitcnt lgkmcnt(1)
	v_mul_f64 v[28:29], v[32:33], -v[6:7]
	v_add_f64 v[12:13], v[12:13], -v[20:21]
	v_add_f64 v[14:15], v[14:15], -v[22:23]
	ds_read_b128 v[20:23], v42
	v_fmac_f64_e32 v[28:29], v[4:5], v[34:35]
	v_mul_f64 v[4:5], v[32:33], v[4:5]
	v_fmac_f64_e32 v[4:5], v[6:7], v[34:35]
	v_add_f64 v[16:17], v[16:17], -v[28:29]
	v_add_f64 v[18:19], v[18:19], -v[4:5]
	ds_read_b128 v[4:7], v43 offset:8192
	s_waitcnt lgkmcnt(2)
	v_mul_f64 v[28:29], v[36:37], -v[26:27]
	v_fmac_f64_e32 v[28:29], v[24:25], v[38:39]
	v_mul_f64 v[24:25], v[36:37], v[24:25]
	v_fmac_f64_e32 v[24:25], v[26:27], v[38:39]
	v_add_f64 v[18:19], v[18:19], -v[24:25]
	s_waitcnt lgkmcnt(1)
	v_mul_f64 v[24:25], v[32:33], v[22:23]
	v_fma_f64 v[24:25], -v[20:21], v[34:35], v[24:25]
	v_mul_f64 v[20:21], v[32:33], -v[20:21]
	v_fma_f64 v[26:27], -v[22:23], v[34:35], v[20:21]
	s_waitcnt lgkmcnt(0)
	v_mul_f64 v[20:21], v[36:37], v[6:7]
	v_max_u32_e32 v3, 2, v0
	v_fma_f64 v[20:21], -v[4:5], v[38:39], v[20:21]
	v_mul_f64 v[4:5], v[36:37], -v[4:5]
	v_lshlrev_b32_e32 v3, 4, v3
	v_add_f64 v[16:17], v[16:17], -v[28:29]
	v_fma_f64 v[22:23], -v[6:7], v[38:39], v[4:5]
	s_barrier
	ds_write_b128 v11, v[12:15]
	ds_write_b128 v1, v[16:19] offset:16384
	ds_write_b128 v1, v[24:27]
	ds_write_b128 v10, v[20:23]
	s_waitcnt lgkmcnt(0)
	s_barrier
	ds_read_b128 v[4:7], v3 offset:4064
	v_add_u32_e32 v22, 2, v0
	v_cmp_gt_i32_e32 vcc, s8, v22
	v_cndmask_b32_e32 v26, v2, v22, vcc
	ds_read_b128 v[12:15], v3 offset:8160
	s_waitcnt lgkmcnt(1)
	v_mul_f64 v[20:21], v[6:7], v[6:7]
	v_fmac_f64_e32 v[20:21], v[4:5], v[4:5]
	v_div_scale_f64 v[16:17], s[4:5], v[20:21], v[20:21], 1.0
	v_rcp_f64_e32 v[18:19], v[16:17]
	v_lshlrev_b32_e32 v43, 4, v26
	v_subrev_u32_e32 v42, 32, v3
	v_fma_f64 v[22:23], -v[16:17], v[18:19], 1.0
	v_fmac_f64_e32 v[18:19], v[18:19], v[22:23]
	v_fma_f64 v[22:23], -v[16:17], v[18:19], 1.0
	v_fmac_f64_e32 v[18:19], v[18:19], v[22:23]
	v_div_scale_f64 v[22:23], vcc, 1.0, v[20:21], 1.0
	v_mul_f64 v[24:25], v[22:23], v[18:19]
	v_fma_f64 v[16:17], -v[16:17], v[24:25], v[22:23]
	s_nop 1
	v_div_fmas_f64 v[22:23], v[16:17], v[18:19], v[24:25]
	ds_read_b128 v[16:19], v1
	v_div_fixup_f64 v[32:33], v[22:23], v[20:21], 1.0
	ds_read_b128 v[20:23], v11
	ds_read_b128 v[24:27], v43 offset:4096
	s_waitcnt lgkmcnt(2)
	v_mul_f64 v[28:29], v[6:7], v[18:19]
	v_mul_f64 v[6:7], v[6:7], -v[16:17]
	s_waitcnt lgkmcnt(0)
	v_mul_f64 v[36:37], v[26:27], v[26:27]
	v_fmac_f64_e32 v[36:37], v[24:25], v[24:25]
	v_div_scale_f64 v[38:39], s[4:5], v[36:37], v[36:37], 1.0
	v_rcp_f64_e32 v[40:41], v[38:39]
	v_fmac_f64_e32 v[28:29], v[16:17], v[4:5]
	v_fmac_f64_e32 v[6:7], v[18:19], v[4:5]
	v_mul_f64 v[34:35], v[32:33], v[28:29]
	v_fma_f64 v[4:5], -v[38:39], v[40:41], 1.0
	v_fmac_f64_e32 v[40:41], v[40:41], v[4:5]
	v_fma_f64 v[4:5], -v[38:39], v[40:41], 1.0
	v_fmac_f64_e32 v[40:41], v[40:41], v[4:5]
	v_div_scale_f64 v[4:5], vcc, 1.0, v[36:37], 1.0
	v_mul_f64 v[16:17], v[4:5], v[40:41]
	ds_read_b128 v[28:31], v43
	v_mul_f64 v[32:33], v[32:33], v[6:7]
	v_fma_f64 v[18:19], -v[38:39], v[16:17], v[4:5]
	ds_read_b128 v[4:7], v10
	v_div_fmas_f64 v[16:17], v[18:19], v[40:41], v[16:17]
	v_div_fixup_f64 v[36:37], v[16:17], v[36:37], 1.0
	ds_read_b128 v[16:19], v1 offset:16384
	s_waitcnt lgkmcnt(1)
	v_mul_f64 v[38:39], v[26:27], v[6:7]
	v_fmac_f64_e32 v[38:39], v[4:5], v[24:25]
	v_mul_f64 v[4:5], v[26:27], -v[4:5]
	v_fmac_f64_e32 v[4:5], v[6:7], v[24:25]
	v_mul_f64 v[38:39], v[36:37], v[38:39]
	v_mul_f64 v[36:37], v[36:37], v[4:5]
	v_mul_f64 v[4:5], v[32:33], -v[14:15]
	v_mul_f64 v[6:7], v[32:33], v[12:13]
	v_fmac_f64_e32 v[4:5], v[12:13], v[34:35]
	v_fmac_f64_e32 v[6:7], v[14:15], v[34:35]
	v_add_f64 v[12:13], v[20:21], -v[4:5]
	v_add_f64 v[14:15], v[22:23], -v[6:7]
	ds_read_b128 v[4:7], v3 offset:16352
	ds_read_b128 v[24:27], v43 offset:16384
	v_mul_f64 v[20:21], v[36:37], -v[30:31]
	v_mul_f64 v[22:23], v[36:37], v[28:29]
	v_fmac_f64_e32 v[20:21], v[28:29], v[38:39]
	v_fmac_f64_e32 v[22:23], v[30:31], v[38:39]
	s_waitcnt lgkmcnt(1)
	v_mul_f64 v[28:29], v[32:33], -v[6:7]
	v_add_f64 v[12:13], v[12:13], -v[20:21]
	v_add_f64 v[14:15], v[14:15], -v[22:23]
	ds_read_b128 v[20:23], v42
	v_fmac_f64_e32 v[28:29], v[4:5], v[34:35]
	v_mul_f64 v[4:5], v[32:33], v[4:5]
	v_fmac_f64_e32 v[4:5], v[6:7], v[34:35]
	v_add_f64 v[16:17], v[16:17], -v[28:29]
	v_add_f64 v[18:19], v[18:19], -v[4:5]
	ds_read_b128 v[4:7], v43 offset:8192
	s_waitcnt lgkmcnt(2)
	v_mul_f64 v[28:29], v[36:37], -v[26:27]
	v_fmac_f64_e32 v[28:29], v[24:25], v[38:39]
	v_mul_f64 v[24:25], v[36:37], v[24:25]
	v_fmac_f64_e32 v[24:25], v[26:27], v[38:39]
	v_add_f64 v[18:19], v[18:19], -v[24:25]
	s_waitcnt lgkmcnt(1)
	v_mul_f64 v[24:25], v[32:33], v[22:23]
	v_fma_f64 v[24:25], -v[20:21], v[34:35], v[24:25]
	v_mul_f64 v[20:21], v[32:33], -v[20:21]
	v_fma_f64 v[26:27], -v[22:23], v[34:35], v[20:21]
	s_waitcnt lgkmcnt(0)
	v_mul_f64 v[20:21], v[36:37], v[6:7]
	v_max_u32_e32 v3, 4, v0
	v_fma_f64 v[20:21], -v[4:5], v[38:39], v[20:21]
	v_mul_f64 v[4:5], v[36:37], -v[4:5]
	v_lshlrev_b32_e32 v3, 4, v3
	v_add_f64 v[16:17], v[16:17], -v[28:29]
	v_fma_f64 v[22:23], -v[6:7], v[38:39], v[4:5]
	s_barrier
	ds_write_b128 v11, v[12:15]
	ds_write_b128 v1, v[16:19] offset:16384
	ds_write_b128 v1, v[24:27]
	ds_write_b128 v10, v[20:23]
	s_waitcnt lgkmcnt(0)
	s_barrier
	ds_read_b128 v[4:7], v3 offset:4032
	v_add_u32_e32 v22, 4, v0
	v_cmp_gt_i32_e32 vcc, s8, v22
	v_cndmask_b32_e32 v26, v2, v22, vcc
	ds_read_b128 v[12:15], v3 offset:8128
	s_waitcnt lgkmcnt(1)
	v_mul_f64 v[20:21], v[6:7], v[6:7]
	v_fmac_f64_e32 v[20:21], v[4:5], v[4:5]
	v_div_scale_f64 v[16:17], s[4:5], v[20:21], v[20:21], 1.0
	v_rcp_f64_e32 v[18:19], v[16:17]
	v_lshlrev_b32_e32 v43, 4, v26
	v_subrev_u32_e32 v42, 64, v3
	v_fma_f64 v[22:23], -v[16:17], v[18:19], 1.0
	v_fmac_f64_e32 v[18:19], v[18:19], v[22:23]
	v_fma_f64 v[22:23], -v[16:17], v[18:19], 1.0
	v_fmac_f64_e32 v[18:19], v[18:19], v[22:23]
	v_div_scale_f64 v[22:23], vcc, 1.0, v[20:21], 1.0
	v_mul_f64 v[24:25], v[22:23], v[18:19]
	v_fma_f64 v[16:17], -v[16:17], v[24:25], v[22:23]
	s_nop 1
	v_div_fmas_f64 v[22:23], v[16:17], v[18:19], v[24:25]
	ds_read_b128 v[16:19], v1
	v_div_fixup_f64 v[32:33], v[22:23], v[20:21], 1.0
	ds_read_b128 v[20:23], v11
	ds_read_b128 v[24:27], v43 offset:4096
	s_waitcnt lgkmcnt(2)
	v_mul_f64 v[28:29], v[6:7], v[18:19]
	v_mul_f64 v[6:7], v[6:7], -v[16:17]
	s_waitcnt lgkmcnt(0)
	v_mul_f64 v[36:37], v[26:27], v[26:27]
	v_fmac_f64_e32 v[36:37], v[24:25], v[24:25]
	v_div_scale_f64 v[38:39], s[4:5], v[36:37], v[36:37], 1.0
	v_rcp_f64_e32 v[40:41], v[38:39]
	v_fmac_f64_e32 v[28:29], v[16:17], v[4:5]
	v_fmac_f64_e32 v[6:7], v[18:19], v[4:5]
	v_mul_f64 v[34:35], v[32:33], v[28:29]
	v_fma_f64 v[4:5], -v[38:39], v[40:41], 1.0
	v_fmac_f64_e32 v[40:41], v[40:41], v[4:5]
	v_fma_f64 v[4:5], -v[38:39], v[40:41], 1.0
	v_fmac_f64_e32 v[40:41], v[40:41], v[4:5]
	v_div_scale_f64 v[4:5], vcc, 1.0, v[36:37], 1.0
	v_mul_f64 v[16:17], v[4:5], v[40:41]
	ds_read_b128 v[28:31], v43
	v_mul_f64 v[32:33], v[32:33], v[6:7]
	v_fma_f64 v[18:19], -v[38:39], v[16:17], v[4:5]
	ds_read_b128 v[4:7], v10
	v_div_fmas_f64 v[16:17], v[18:19], v[40:41], v[16:17]
	v_div_fixup_f64 v[36:37], v[16:17], v[36:37], 1.0
	ds_read_b128 v[16:19], v1 offset:16384
	s_waitcnt lgkmcnt(1)
	v_mul_f64 v[38:39], v[26:27], v[6:7]
	v_fmac_f64_e32 v[38:39], v[4:5], v[24:25]
	v_mul_f64 v[4:5], v[26:27], -v[4:5]
	v_fmac_f64_e32 v[4:5], v[6:7], v[24:25]
	v_mul_f64 v[38:39], v[36:37], v[38:39]
	v_mul_f64 v[36:37], v[36:37], v[4:5]
	v_mul_f64 v[4:5], v[32:33], -v[14:15]
	v_mul_f64 v[6:7], v[32:33], v[12:13]
	v_fmac_f64_e32 v[4:5], v[12:13], v[34:35]
	v_fmac_f64_e32 v[6:7], v[14:15], v[34:35]
	v_add_f64 v[12:13], v[20:21], -v[4:5]
	v_add_f64 v[14:15], v[22:23], -v[6:7]
	ds_read_b128 v[4:7], v3 offset:16320
	ds_read_b128 v[24:27], v43 offset:16384
	v_mul_f64 v[20:21], v[36:37], -v[30:31]
	v_mul_f64 v[22:23], v[36:37], v[28:29]
	v_fmac_f64_e32 v[20:21], v[28:29], v[38:39]
	v_fmac_f64_e32 v[22:23], v[30:31], v[38:39]
	s_waitcnt lgkmcnt(1)
	v_mul_f64 v[28:29], v[32:33], -v[6:7]
	v_add_f64 v[12:13], v[12:13], -v[20:21]
	v_add_f64 v[14:15], v[14:15], -v[22:23]
	ds_read_b128 v[20:23], v42
	v_fmac_f64_e32 v[28:29], v[4:5], v[34:35]
	v_mul_f64 v[4:5], v[32:33], v[4:5]
	v_fmac_f64_e32 v[4:5], v[6:7], v[34:35]
	v_add_f64 v[16:17], v[16:17], -v[28:29]
	v_add_f64 v[18:19], v[18:19], -v[4:5]
	ds_read_b128 v[4:7], v43 offset:8192
	s_waitcnt lgkmcnt(2)
	v_mul_f64 v[28:29], v[36:37], -v[26:27]
	v_fmac_f64_e32 v[28:29], v[24:25], v[38:39]
	v_mul_f64 v[24:25], v[36:37], v[24:25]
	v_fmac_f64_e32 v[24:25], v[26:27], v[38:39]
	v_add_f64 v[18:19], v[18:19], -v[24:25]
	s_waitcnt lgkmcnt(1)
	v_mul_f64 v[24:25], v[32:33], v[22:23]
	v_fma_f64 v[24:25], -v[20:21], v[34:35], v[24:25]
	v_mul_f64 v[20:21], v[32:33], -v[20:21]
	v_fma_f64 v[26:27], -v[22:23], v[34:35], v[20:21]
	s_waitcnt lgkmcnt(0)
	v_mul_f64 v[20:21], v[36:37], v[6:7]
	v_max_u32_e32 v3, 8, v0
	v_fma_f64 v[20:21], -v[4:5], v[38:39], v[20:21]
	v_mul_f64 v[4:5], v[36:37], -v[4:5]
	v_lshlrev_b32_e32 v3, 4, v3
	v_add_f64 v[16:17], v[16:17], -v[28:29]
	v_fma_f64 v[22:23], -v[6:7], v[38:39], v[4:5]
	s_barrier
	ds_write_b128 v11, v[12:15]
	ds_write_b128 v1, v[16:19] offset:16384
	ds_write_b128 v1, v[24:27]
	ds_write_b128 v10, v[20:23]
	s_waitcnt lgkmcnt(0)
	s_barrier
	ds_read_b128 v[4:7], v3 offset:3968
	v_add_u32_e32 v22, 8, v0
	v_cmp_gt_i32_e32 vcc, s8, v22
	v_cndmask_b32_e32 v26, v2, v22, vcc
	ds_read_b128 v[12:15], v3 offset:8064
	s_waitcnt lgkmcnt(1)
	v_mul_f64 v[20:21], v[6:7], v[6:7]
	v_fmac_f64_e32 v[20:21], v[4:5], v[4:5]
	v_div_scale_f64 v[16:17], s[4:5], v[20:21], v[20:21], 1.0
	v_rcp_f64_e32 v[18:19], v[16:17]
	v_lshlrev_b32_e32 v43, 4, v26
	v_add_u32_e32 v42, 0xffffff80, v3
	v_fma_f64 v[22:23], -v[16:17], v[18:19], 1.0
	v_fmac_f64_e32 v[18:19], v[18:19], v[22:23]
	v_fma_f64 v[22:23], -v[16:17], v[18:19], 1.0
	v_fmac_f64_e32 v[18:19], v[18:19], v[22:23]
	v_div_scale_f64 v[22:23], vcc, 1.0, v[20:21], 1.0
	v_mul_f64 v[24:25], v[22:23], v[18:19]
	v_fma_f64 v[16:17], -v[16:17], v[24:25], v[22:23]
	s_nop 1
	v_div_fmas_f64 v[22:23], v[16:17], v[18:19], v[24:25]
	ds_read_b128 v[16:19], v1
	v_div_fixup_f64 v[32:33], v[22:23], v[20:21], 1.0
	ds_read_b128 v[20:23], v11
	ds_read_b128 v[24:27], v43 offset:4096
	s_waitcnt lgkmcnt(2)
	v_mul_f64 v[28:29], v[6:7], v[18:19]
	v_mul_f64 v[6:7], v[6:7], -v[16:17]
	s_waitcnt lgkmcnt(0)
	v_mul_f64 v[36:37], v[26:27], v[26:27]
	v_fmac_f64_e32 v[36:37], v[24:25], v[24:25]
	v_div_scale_f64 v[38:39], s[4:5], v[36:37], v[36:37], 1.0
	v_rcp_f64_e32 v[40:41], v[38:39]
	v_fmac_f64_e32 v[28:29], v[16:17], v[4:5]
	v_fmac_f64_e32 v[6:7], v[18:19], v[4:5]
	v_mul_f64 v[34:35], v[32:33], v[28:29]
	v_fma_f64 v[4:5], -v[38:39], v[40:41], 1.0
	v_fmac_f64_e32 v[40:41], v[40:41], v[4:5]
	v_fma_f64 v[4:5], -v[38:39], v[40:41], 1.0
	v_fmac_f64_e32 v[40:41], v[40:41], v[4:5]
	v_div_scale_f64 v[4:5], vcc, 1.0, v[36:37], 1.0
	v_mul_f64 v[16:17], v[4:5], v[40:41]
	ds_read_b128 v[28:31], v43
	v_mul_f64 v[32:33], v[32:33], v[6:7]
	v_fma_f64 v[18:19], -v[38:39], v[16:17], v[4:5]
	ds_read_b128 v[4:7], v10
	v_div_fmas_f64 v[16:17], v[18:19], v[40:41], v[16:17]
	v_div_fixup_f64 v[36:37], v[16:17], v[36:37], 1.0
	ds_read_b128 v[16:19], v1 offset:16384
	s_waitcnt lgkmcnt(1)
	v_mul_f64 v[38:39], v[26:27], v[6:7]
	v_fmac_f64_e32 v[38:39], v[4:5], v[24:25]
	v_mul_f64 v[4:5], v[26:27], -v[4:5]
	v_fmac_f64_e32 v[4:5], v[6:7], v[24:25]
	v_mul_f64 v[38:39], v[36:37], v[38:39]
	v_mul_f64 v[36:37], v[36:37], v[4:5]
	v_mul_f64 v[4:5], v[32:33], -v[14:15]
	v_mul_f64 v[6:7], v[32:33], v[12:13]
	v_fmac_f64_e32 v[4:5], v[12:13], v[34:35]
	v_fmac_f64_e32 v[6:7], v[14:15], v[34:35]
	v_add_f64 v[12:13], v[20:21], -v[4:5]
	v_add_f64 v[14:15], v[22:23], -v[6:7]
	ds_read_b128 v[4:7], v3 offset:16256
	ds_read_b128 v[24:27], v43 offset:16384
	v_mul_f64 v[20:21], v[36:37], -v[30:31]
	v_mul_f64 v[22:23], v[36:37], v[28:29]
	v_fmac_f64_e32 v[20:21], v[28:29], v[38:39]
	v_fmac_f64_e32 v[22:23], v[30:31], v[38:39]
	s_waitcnt lgkmcnt(1)
	v_mul_f64 v[28:29], v[32:33], -v[6:7]
	v_add_f64 v[12:13], v[12:13], -v[20:21]
	v_add_f64 v[14:15], v[14:15], -v[22:23]
	ds_read_b128 v[20:23], v42
	v_fmac_f64_e32 v[28:29], v[4:5], v[34:35]
	v_mul_f64 v[4:5], v[32:33], v[4:5]
	v_fmac_f64_e32 v[4:5], v[6:7], v[34:35]
	v_add_f64 v[16:17], v[16:17], -v[28:29]
	v_add_f64 v[18:19], v[18:19], -v[4:5]
	ds_read_b128 v[4:7], v43 offset:8192
	s_waitcnt lgkmcnt(2)
	v_mul_f64 v[28:29], v[36:37], -v[26:27]
	v_fmac_f64_e32 v[28:29], v[24:25], v[38:39]
	v_mul_f64 v[24:25], v[36:37], v[24:25]
	v_fmac_f64_e32 v[24:25], v[26:27], v[38:39]
	v_add_f64 v[18:19], v[18:19], -v[24:25]
	s_waitcnt lgkmcnt(1)
	v_mul_f64 v[24:25], v[32:33], v[22:23]
	v_fma_f64 v[24:25], -v[20:21], v[34:35], v[24:25]
	v_mul_f64 v[20:21], v[32:33], -v[20:21]
	v_fma_f64 v[26:27], -v[22:23], v[34:35], v[20:21]
	s_waitcnt lgkmcnt(0)
	v_mul_f64 v[20:21], v[36:37], v[6:7]
	v_max_u32_e32 v3, 16, v0
	v_fma_f64 v[20:21], -v[4:5], v[38:39], v[20:21]
	v_mul_f64 v[4:5], v[36:37], -v[4:5]
	v_lshlrev_b32_e32 v3, 4, v3
	v_add_f64 v[16:17], v[16:17], -v[28:29]
	v_fma_f64 v[22:23], -v[6:7], v[38:39], v[4:5]
	s_barrier
	ds_write_b128 v11, v[12:15]
	ds_write_b128 v1, v[16:19] offset:16384
	ds_write_b128 v1, v[24:27]
	ds_write_b128 v10, v[20:23]
	s_waitcnt lgkmcnt(0)
	s_barrier
	ds_read_b128 v[4:7], v3 offset:3840
	v_add_u32_e32 v22, 16, v0
	v_cmp_gt_i32_e32 vcc, s8, v22
	v_cndmask_b32_e32 v26, v2, v22, vcc
	ds_read_b128 v[12:15], v3 offset:7936
	s_waitcnt lgkmcnt(1)
	v_mul_f64 v[20:21], v[6:7], v[6:7]
	v_fmac_f64_e32 v[20:21], v[4:5], v[4:5]
	v_div_scale_f64 v[16:17], s[4:5], v[20:21], v[20:21], 1.0
	v_rcp_f64_e32 v[18:19], v[16:17]
	v_lshlrev_b32_e32 v43, 4, v26
	v_add_u32_e32 v42, 0xffffff00, v3
	v_fma_f64 v[22:23], -v[16:17], v[18:19], 1.0
	v_fmac_f64_e32 v[18:19], v[18:19], v[22:23]
	v_fma_f64 v[22:23], -v[16:17], v[18:19], 1.0
	v_fmac_f64_e32 v[18:19], v[18:19], v[22:23]
	v_div_scale_f64 v[22:23], vcc, 1.0, v[20:21], 1.0
	v_mul_f64 v[24:25], v[22:23], v[18:19]
	v_fma_f64 v[16:17], -v[16:17], v[24:25], v[22:23]
	s_nop 1
	v_div_fmas_f64 v[22:23], v[16:17], v[18:19], v[24:25]
	ds_read_b128 v[16:19], v1
	v_div_fixup_f64 v[32:33], v[22:23], v[20:21], 1.0
	ds_read_b128 v[20:23], v11
	ds_read_b128 v[24:27], v43 offset:4096
	s_waitcnt lgkmcnt(2)
	v_mul_f64 v[28:29], v[6:7], v[18:19]
	v_mul_f64 v[6:7], v[6:7], -v[16:17]
	s_waitcnt lgkmcnt(0)
	v_mul_f64 v[36:37], v[26:27], v[26:27]
	v_fmac_f64_e32 v[36:37], v[24:25], v[24:25]
	v_div_scale_f64 v[38:39], s[4:5], v[36:37], v[36:37], 1.0
	v_rcp_f64_e32 v[40:41], v[38:39]
	v_fmac_f64_e32 v[28:29], v[16:17], v[4:5]
	v_fmac_f64_e32 v[6:7], v[18:19], v[4:5]
	v_mul_f64 v[34:35], v[32:33], v[28:29]
	v_fma_f64 v[4:5], -v[38:39], v[40:41], 1.0
	v_fmac_f64_e32 v[40:41], v[40:41], v[4:5]
	v_fma_f64 v[4:5], -v[38:39], v[40:41], 1.0
	v_fmac_f64_e32 v[40:41], v[40:41], v[4:5]
	v_div_scale_f64 v[4:5], vcc, 1.0, v[36:37], 1.0
	v_mul_f64 v[16:17], v[4:5], v[40:41]
	ds_read_b128 v[28:31], v43
	v_mul_f64 v[32:33], v[32:33], v[6:7]
	v_fma_f64 v[18:19], -v[38:39], v[16:17], v[4:5]
	ds_read_b128 v[4:7], v10
	v_div_fmas_f64 v[16:17], v[18:19], v[40:41], v[16:17]
	v_div_fixup_f64 v[36:37], v[16:17], v[36:37], 1.0
	ds_read_b128 v[16:19], v1 offset:16384
	s_waitcnt lgkmcnt(1)
	v_mul_f64 v[38:39], v[26:27], v[6:7]
	v_fmac_f64_e32 v[38:39], v[4:5], v[24:25]
	v_mul_f64 v[4:5], v[26:27], -v[4:5]
	v_fmac_f64_e32 v[4:5], v[6:7], v[24:25]
	v_mul_f64 v[38:39], v[36:37], v[38:39]
	v_mul_f64 v[36:37], v[36:37], v[4:5]
	v_mul_f64 v[4:5], v[32:33], -v[14:15]
	v_mul_f64 v[6:7], v[32:33], v[12:13]
	v_fmac_f64_e32 v[4:5], v[12:13], v[34:35]
	v_fmac_f64_e32 v[6:7], v[14:15], v[34:35]
	v_add_f64 v[12:13], v[20:21], -v[4:5]
	v_add_f64 v[14:15], v[22:23], -v[6:7]
	ds_read_b128 v[4:7], v3 offset:16128
	ds_read_b128 v[24:27], v43 offset:16384
	v_mul_f64 v[20:21], v[36:37], -v[30:31]
	v_mul_f64 v[22:23], v[36:37], v[28:29]
	v_fmac_f64_e32 v[20:21], v[28:29], v[38:39]
	v_fmac_f64_e32 v[22:23], v[30:31], v[38:39]
	s_waitcnt lgkmcnt(1)
	v_mul_f64 v[28:29], v[32:33], -v[6:7]
	v_add_f64 v[12:13], v[12:13], -v[20:21]
	v_add_f64 v[14:15], v[14:15], -v[22:23]
	ds_read_b128 v[20:23], v42
	v_fmac_f64_e32 v[28:29], v[4:5], v[34:35]
	v_mul_f64 v[4:5], v[32:33], v[4:5]
	v_fmac_f64_e32 v[4:5], v[6:7], v[34:35]
	v_add_f64 v[16:17], v[16:17], -v[28:29]
	v_add_f64 v[18:19], v[18:19], -v[4:5]
	ds_read_b128 v[4:7], v43 offset:8192
	s_waitcnt lgkmcnt(2)
	v_mul_f64 v[28:29], v[36:37], -v[26:27]
	v_fmac_f64_e32 v[28:29], v[24:25], v[38:39]
	v_mul_f64 v[24:25], v[36:37], v[24:25]
	v_fmac_f64_e32 v[24:25], v[26:27], v[38:39]
	v_add_f64 v[18:19], v[18:19], -v[24:25]
	s_waitcnt lgkmcnt(1)
	v_mul_f64 v[24:25], v[32:33], v[22:23]
	v_fma_f64 v[24:25], -v[20:21], v[34:35], v[24:25]
	v_mul_f64 v[20:21], v[32:33], -v[20:21]
	v_fma_f64 v[26:27], -v[22:23], v[34:35], v[20:21]
	s_waitcnt lgkmcnt(0)
	v_mul_f64 v[20:21], v[36:37], v[6:7]
	v_max_u32_e32 v3, 32, v0
	v_fma_f64 v[20:21], -v[4:5], v[38:39], v[20:21]
	v_mul_f64 v[4:5], v[36:37], -v[4:5]
	v_lshlrev_b32_e32 v3, 4, v3
	v_add_f64 v[16:17], v[16:17], -v[28:29]
	v_fma_f64 v[22:23], -v[6:7], v[38:39], v[4:5]
	s_barrier
	ds_write_b128 v11, v[12:15]
	ds_write_b128 v1, v[16:19] offset:16384
	ds_write_b128 v1, v[24:27]
	ds_write_b128 v10, v[20:23]
	s_waitcnt lgkmcnt(0)
	s_barrier
	ds_read_b128 v[4:7], v3 offset:3584
	v_add_u32_e32 v22, 32, v0
	v_cmp_gt_i32_e32 vcc, s8, v22
	v_cndmask_b32_e32 v26, v2, v22, vcc
	ds_read_b128 v[12:15], v3 offset:7680
	s_waitcnt lgkmcnt(1)
	v_mul_f64 v[20:21], v[6:7], v[6:7]
	v_fmac_f64_e32 v[20:21], v[4:5], v[4:5]
	v_div_scale_f64 v[16:17], s[4:5], v[20:21], v[20:21], 1.0
	v_rcp_f64_e32 v[18:19], v[16:17]
	v_lshlrev_b32_e32 v43, 4, v26
	v_add_u32_e32 v42, 0xfffffe00, v3
	v_fma_f64 v[22:23], -v[16:17], v[18:19], 1.0
	v_fmac_f64_e32 v[18:19], v[18:19], v[22:23]
	v_fma_f64 v[22:23], -v[16:17], v[18:19], 1.0
	v_fmac_f64_e32 v[18:19], v[18:19], v[22:23]
	v_div_scale_f64 v[22:23], vcc, 1.0, v[20:21], 1.0
	v_mul_f64 v[24:25], v[22:23], v[18:19]
	v_fma_f64 v[16:17], -v[16:17], v[24:25], v[22:23]
	s_nop 1
	v_div_fmas_f64 v[22:23], v[16:17], v[18:19], v[24:25]
	ds_read_b128 v[16:19], v1
	v_div_fixup_f64 v[32:33], v[22:23], v[20:21], 1.0
	ds_read_b128 v[20:23], v11
	ds_read_b128 v[24:27], v43 offset:4096
	s_waitcnt lgkmcnt(2)
	v_mul_f64 v[28:29], v[6:7], v[18:19]
	v_mul_f64 v[6:7], v[6:7], -v[16:17]
	s_waitcnt lgkmcnt(0)
	v_mul_f64 v[36:37], v[26:27], v[26:27]
	v_fmac_f64_e32 v[36:37], v[24:25], v[24:25]
	v_div_scale_f64 v[38:39], s[4:5], v[36:37], v[36:37], 1.0
	v_rcp_f64_e32 v[40:41], v[38:39]
	v_fmac_f64_e32 v[28:29], v[16:17], v[4:5]
	v_fmac_f64_e32 v[6:7], v[18:19], v[4:5]
	v_mul_f64 v[34:35], v[32:33], v[28:29]
	v_fma_f64 v[4:5], -v[38:39], v[40:41], 1.0
	v_fmac_f64_e32 v[40:41], v[40:41], v[4:5]
	v_fma_f64 v[4:5], -v[38:39], v[40:41], 1.0
	v_fmac_f64_e32 v[40:41], v[40:41], v[4:5]
	v_div_scale_f64 v[4:5], vcc, 1.0, v[36:37], 1.0
	v_mul_f64 v[16:17], v[4:5], v[40:41]
	ds_read_b128 v[28:31], v43
	v_mul_f64 v[32:33], v[32:33], v[6:7]
	v_fma_f64 v[18:19], -v[38:39], v[16:17], v[4:5]
	ds_read_b128 v[4:7], v10
	v_div_fmas_f64 v[16:17], v[18:19], v[40:41], v[16:17]
	v_div_fixup_f64 v[36:37], v[16:17], v[36:37], 1.0
	ds_read_b128 v[16:19], v1 offset:16384
	s_waitcnt lgkmcnt(1)
	v_mul_f64 v[38:39], v[26:27], v[6:7]
	v_fmac_f64_e32 v[38:39], v[4:5], v[24:25]
	v_mul_f64 v[4:5], v[26:27], -v[4:5]
	v_fmac_f64_e32 v[4:5], v[6:7], v[24:25]
	v_mul_f64 v[38:39], v[36:37], v[38:39]
	v_mul_f64 v[36:37], v[36:37], v[4:5]
	v_mul_f64 v[4:5], v[32:33], -v[14:15]
	v_mul_f64 v[6:7], v[32:33], v[12:13]
	v_fmac_f64_e32 v[4:5], v[12:13], v[34:35]
	v_fmac_f64_e32 v[6:7], v[14:15], v[34:35]
	v_add_f64 v[12:13], v[20:21], -v[4:5]
	v_add_f64 v[14:15], v[22:23], -v[6:7]
	ds_read_b128 v[4:7], v3 offset:15872
	ds_read_b128 v[24:27], v43 offset:16384
	v_mul_f64 v[20:21], v[36:37], -v[30:31]
	v_mul_f64 v[22:23], v[36:37], v[28:29]
	v_fmac_f64_e32 v[20:21], v[28:29], v[38:39]
	v_fmac_f64_e32 v[22:23], v[30:31], v[38:39]
	s_waitcnt lgkmcnt(1)
	v_mul_f64 v[28:29], v[32:33], -v[6:7]
	v_add_f64 v[12:13], v[12:13], -v[20:21]
	v_add_f64 v[14:15], v[14:15], -v[22:23]
	ds_read_b128 v[20:23], v42
	v_fmac_f64_e32 v[28:29], v[4:5], v[34:35]
	v_mul_f64 v[4:5], v[32:33], v[4:5]
	v_fmac_f64_e32 v[4:5], v[6:7], v[34:35]
	v_add_f64 v[16:17], v[16:17], -v[28:29]
	v_add_f64 v[18:19], v[18:19], -v[4:5]
	ds_read_b128 v[4:7], v43 offset:8192
	s_waitcnt lgkmcnt(2)
	v_mul_f64 v[28:29], v[36:37], -v[26:27]
	v_fmac_f64_e32 v[28:29], v[24:25], v[38:39]
	v_mul_f64 v[24:25], v[36:37], v[24:25]
	v_fmac_f64_e32 v[24:25], v[26:27], v[38:39]
	v_add_f64 v[18:19], v[18:19], -v[24:25]
	s_waitcnt lgkmcnt(1)
	v_mul_f64 v[24:25], v[32:33], v[22:23]
	v_fma_f64 v[24:25], -v[20:21], v[34:35], v[24:25]
	v_mul_f64 v[20:21], v[32:33], -v[20:21]
	v_fma_f64 v[26:27], -v[22:23], v[34:35], v[20:21]
	s_waitcnt lgkmcnt(0)
	v_mul_f64 v[20:21], v[36:37], v[6:7]
	v_max_u32_e32 v3, 64, v0
	v_fma_f64 v[20:21], -v[4:5], v[38:39], v[20:21]
	v_mul_f64 v[4:5], v[36:37], -v[4:5]
	v_lshlrev_b32_e32 v40, 4, v3
	v_add_f64 v[16:17], v[16:17], -v[28:29]
	v_fma_f64 v[22:23], -v[6:7], v[38:39], v[4:5]
	s_barrier
	ds_write_b128 v11, v[12:15]
	ds_write_b128 v1, v[16:19] offset:16384
	ds_write_b128 v1, v[24:27]
	ds_write_b128 v10, v[20:23]
	s_waitcnt lgkmcnt(0)
	s_barrier
	ds_read_b128 v[4:7], v40 offset:3072
	v_add_u32_e32 v3, 64, v0
	v_cmp_gt_i32_e32 vcc, s8, v3
	v_cndmask_b32_e32 v24, v2, v3, vcc
	ds_read_b128 v[12:15], v40 offset:7168
	s_waitcnt lgkmcnt(1)
	v_mul_f64 v[20:21], v[6:7], v[6:7]
	v_fmac_f64_e32 v[20:21], v[4:5], v[4:5]
	v_div_scale_f64 v[16:17], s[4:5], v[20:21], v[20:21], 1.0
	v_rcp_f64_e32 v[18:19], v[16:17]
	v_lshlrev_b32_e32 v42, 4, v24
	v_add_u32_e32 v41, 0xfffffc00, v40
	v_fma_f64 v[2:3], -v[16:17], v[18:19], 1.0
	v_fmac_f64_e32 v[18:19], v[18:19], v[2:3]
	v_fma_f64 v[2:3], -v[16:17], v[18:19], 1.0
	v_fmac_f64_e32 v[18:19], v[18:19], v[2:3]
	v_div_scale_f64 v[2:3], vcc, 1.0, v[20:21], 1.0
	v_mul_f64 v[22:23], v[2:3], v[18:19]
	v_fma_f64 v[2:3], -v[16:17], v[22:23], v[2:3]
	s_nop 1
	v_div_fmas_f64 v[2:3], v[2:3], v[18:19], v[22:23]
	ds_read_b128 v[16:19], v1
	v_div_fixup_f64 v[2:3], v[2:3], v[20:21], 1.0
	ds_read_b128 v[20:23], v11
	ds_read_b128 v[24:27], v42 offset:4096
	s_waitcnt lgkmcnt(2)
	v_mul_f64 v[28:29], v[6:7], v[18:19]
	v_mul_f64 v[6:7], v[6:7], -v[16:17]
	s_waitcnt lgkmcnt(0)
	v_mul_f64 v[34:35], v[26:27], v[26:27]
	v_fmac_f64_e32 v[34:35], v[24:25], v[24:25]
	v_div_scale_f64 v[36:37], s[4:5], v[34:35], v[34:35], 1.0
	v_rcp_f64_e32 v[38:39], v[36:37]
	v_fmac_f64_e32 v[28:29], v[16:17], v[4:5]
	v_fmac_f64_e32 v[6:7], v[18:19], v[4:5]
	v_mul_f64 v[32:33], v[2:3], v[28:29]
	v_mul_f64 v[6:7], v[2:3], v[6:7]
	v_fma_f64 v[2:3], -v[36:37], v[38:39], 1.0
	v_fmac_f64_e32 v[38:39], v[38:39], v[2:3]
	v_fma_f64 v[2:3], -v[36:37], v[38:39], 1.0
	v_fmac_f64_e32 v[38:39], v[38:39], v[2:3]
	v_div_scale_f64 v[2:3], vcc, 1.0, v[34:35], 1.0
	v_mul_f64 v[16:17], v[2:3], v[38:39]
	v_fma_f64 v[18:19], -v[36:37], v[16:17], v[2:3]
	ds_read_b128 v[2:5], v10
	s_nop 0
	v_div_fmas_f64 v[16:17], v[18:19], v[38:39], v[16:17]
	v_div_fixup_f64 v[34:35], v[16:17], v[34:35], 1.0
	ds_read_b128 v[16:19], v1 offset:16384
	ds_read_b128 v[28:31], v42
	s_waitcnt lgkmcnt(2)
	v_mul_f64 v[36:37], v[26:27], v[4:5]
	v_fmac_f64_e32 v[36:37], v[2:3], v[24:25]
	v_mul_f64 v[2:3], v[26:27], -v[2:3]
	v_fmac_f64_e32 v[2:3], v[4:5], v[24:25]
	ds_read_b128 v[24:27], v42 offset:16384
	v_mul_f64 v[36:37], v[34:35], v[36:37]
	v_mul_f64 v[34:35], v[34:35], v[2:3]
	v_mul_f64 v[2:3], v[6:7], -v[14:15]
	v_mul_f64 v[4:5], v[6:7], v[12:13]
	v_fmac_f64_e32 v[2:3], v[12:13], v[32:33]
	v_fmac_f64_e32 v[4:5], v[14:15], v[32:33]
	v_add_f64 v[12:13], v[20:21], -v[2:3]
	v_add_f64 v[14:15], v[22:23], -v[4:5]
	ds_read_b128 v[2:5], v40 offset:15360
	s_waitcnt lgkmcnt(2)
	v_mul_f64 v[20:21], v[34:35], -v[30:31]
	v_mul_f64 v[22:23], v[34:35], v[28:29]
	v_fmac_f64_e32 v[20:21], v[28:29], v[36:37]
	v_fmac_f64_e32 v[22:23], v[30:31], v[36:37]
	v_add_f64 v[12:13], v[12:13], -v[20:21]
	v_add_f64 v[14:15], v[14:15], -v[22:23]
	ds_read_b128 v[20:23], v41
	s_waitcnt lgkmcnt(1)
	v_mul_f64 v[28:29], v[6:7], -v[4:5]
	v_fmac_f64_e32 v[28:29], v[2:3], v[32:33]
	v_mul_f64 v[2:3], v[6:7], v[2:3]
	v_fmac_f64_e32 v[2:3], v[4:5], v[32:33]
	v_add_f64 v[18:19], v[18:19], -v[2:3]
	ds_read_b128 v[2:5], v42 offset:8192
	v_add_f64 v[16:17], v[16:17], -v[28:29]
	v_mul_f64 v[28:29], v[34:35], -v[26:27]
	v_fmac_f64_e32 v[28:29], v[24:25], v[36:37]
	v_mul_f64 v[24:25], v[34:35], v[24:25]
	v_fmac_f64_e32 v[24:25], v[26:27], v[36:37]
	v_add_f64 v[18:19], v[18:19], -v[24:25]
	s_waitcnt lgkmcnt(1)
	v_mul_f64 v[24:25], v[6:7], v[22:23]
	v_mul_f64 v[6:7], v[6:7], -v[20:21]
	v_fma_f64 v[26:27], -v[22:23], v[32:33], v[6:7]
	s_waitcnt lgkmcnt(0)
	v_mul_f64 v[6:7], v[34:35], v[4:5]
	s_movk_i32 s4, 0x80
	v_fma_f64 v[24:25], -v[20:21], v[32:33], v[24:25]
	v_fma_f64 v[20:21], -v[2:3], v[36:37], v[6:7]
	v_mul_f64 v[2:3], v[34:35], -v[2:3]
	v_cmp_gt_u32_e32 vcc, s4, v0
	v_add_f64 v[16:17], v[16:17], -v[28:29]
	v_fma_f64 v[22:23], -v[4:5], v[36:37], v[2:3]
	s_barrier
	ds_write_b128 v11, v[12:15]
	ds_write_b128 v1, v[16:19] offset:16384
	ds_write_b128 v1, v[24:27]
	ds_write_b128 v10, v[20:23]
	s_waitcnt lgkmcnt(0)
	s_barrier
	s_and_saveexec_b64 s[4:5], vcc
	s_cbranch_execz .LBB78_14
; %bb.9:
	v_or_b32_e32 v6, 0x80, v0
	v_or_b32_e32 v7, 0x4000, v1
	v_cmp_le_i32_e32 vcc, s8, v6
                                        ; implicit-def: $vgpr4_vgpr5
	s_and_saveexec_b64 s[6:7], vcc
	s_xor_b64 s[6:7], exec, s[6:7]
	s_cbranch_execz .LBB78_11
; %bb.10:
	ds_read_b128 v[10:13], v11
	ds_read_b128 v[4:7], v7
                                        ; implicit-def: $vgpr1
	s_waitcnt lgkmcnt(1)
	v_mul_f64 v[2:3], v[12:13], v[12:13]
	v_fmac_f64_e32 v[2:3], v[10:11], v[10:11]
	v_div_scale_f64 v[16:17], s[8:9], v[2:3], v[2:3], 1.0
	v_rcp_f64_e32 v[18:19], v[16:17]
	v_div_scale_f64 v[20:21], vcc, 1.0, v[2:3], 1.0
	s_waitcnt lgkmcnt(0)
	v_mul_f64 v[14:15], v[12:13], v[6:7]
	v_fma_f64 v[22:23], -v[16:17], v[18:19], 1.0
	v_fmac_f64_e32 v[18:19], v[18:19], v[22:23]
	v_fma_f64 v[22:23], -v[16:17], v[18:19], 1.0
	v_fmac_f64_e32 v[18:19], v[18:19], v[22:23]
	v_mul_f64 v[22:23], v[20:21], v[18:19]
	v_fma_f64 v[16:17], -v[16:17], v[22:23], v[20:21]
	v_fmac_f64_e32 v[14:15], v[4:5], v[10:11]
	v_div_fmas_f64 v[16:17], v[16:17], v[18:19], v[22:23]
	v_mul_f64 v[4:5], v[12:13], -v[4:5]
	v_div_fixup_f64 v[16:17], v[16:17], v[2:3], 1.0
	v_fmac_f64_e32 v[4:5], v[6:7], v[10:11]
	v_mul_f64 v[2:3], v[16:17], v[14:15]
	v_mul_f64 v[4:5], v[16:17], v[4:5]
	v_mov_b32_e32 v6, v0
                                        ; implicit-def: $vgpr11
                                        ; implicit-def: $vgpr10
                                        ; implicit-def: $vgpr7
.LBB78_11:
	s_andn2_saveexec_b64 s[6:7], s[6:7]
	s_cbranch_execz .LBB78_13
; %bb.12:
	ds_read_b128 v[2:5], v11
	ds_read_b128 v[12:15], v11 offset:2048
	ds_read_b128 v[16:19], v1 offset:2048
	ds_read_b128 v[20:23], v10
	s_waitcnt lgkmcnt(2)
	v_mul_f64 v[24:25], v[4:5], v[12:13]
	v_mul_f64 v[10:11], v[4:5], -v[14:15]
	s_waitcnt lgkmcnt(0)
	v_mul_f64 v[28:29], v[18:19], v[20:21]
	v_fmac_f64_e32 v[24:25], v[14:15], v[2:3]
	v_mul_f64 v[26:27], v[18:19], -v[22:23]
	v_fmac_f64_e32 v[28:29], v[22:23], v[16:17]
	v_fmac_f64_e32 v[10:11], v[12:13], v[2:3]
	;; [unrolled: 1-line block ×3, first 2 shown]
	v_add_f64 v[28:29], v[24:25], -v[28:29]
	v_add_f64 v[10:11], v[10:11], -v[26:27]
	v_mul_f64 v[24:25], v[28:29], v[28:29]
	v_fmac_f64_e32 v[24:25], v[10:11], v[10:11]
	v_div_scale_f64 v[26:27], s[8:9], v[24:25], v[24:25], 1.0
	v_rcp_f64_e32 v[30:31], v[26:27]
	v_fma_f64 v[32:33], -v[26:27], v[30:31], 1.0
	v_fmac_f64_e32 v[30:31], v[30:31], v[32:33]
	v_fma_f64 v[32:33], -v[26:27], v[30:31], 1.0
	v_fmac_f64_e32 v[30:31], v[30:31], v[32:33]
	v_div_scale_f64 v[32:33], vcc, 1.0, v[24:25], 1.0
	v_mul_f64 v[34:35], v[32:33], v[30:31]
	v_fma_f64 v[26:27], -v[26:27], v[34:35], v[32:33]
	v_fma_f64 v[32:33], 0, v[28:29], v[10:11]
	s_nop 0
	v_div_fmas_f64 v[26:27], v[26:27], v[30:31], v[34:35]
	v_div_fixup_f64 v[30:31], v[26:27], v[24:25], 1.0
	ds_read_b128 v[24:27], v7
	v_fma_f64 v[10:11], v[10:11], 0, -v[28:29]
	v_mul_f64 v[32:33], v[32:33], v[30:31]
	v_mul_f64 v[34:35], v[10:11], v[30:31]
	ds_read_b128 v[28:31], v7 offset:2048
	s_waitcnt lgkmcnt(1)
	v_mul_f64 v[10:11], v[26:27], -v[14:15]
	v_fmac_f64_e32 v[10:11], v[12:13], v[24:25]
	v_mul_f64 v[12:13], v[12:13], v[26:27]
	v_fmac_f64_e32 v[12:13], v[14:15], v[24:25]
	s_waitcnt lgkmcnt(0)
	v_mul_f64 v[14:15], v[30:31], -v[22:23]
	v_fmac_f64_e32 v[14:15], v[20:21], v[28:29]
	v_mul_f64 v[20:21], v[20:21], v[30:31]
	v_fmac_f64_e32 v[20:21], v[22:23], v[28:29]
	v_add_f64 v[14:15], v[10:11], -v[14:15]
	v_add_f64 v[20:21], v[12:13], -v[20:21]
	v_mul_f64 v[10:11], v[34:35], -v[20:21]
	v_mul_f64 v[12:13], v[34:35], v[14:15]
	v_fmac_f64_e32 v[10:11], v[14:15], v[32:33]
	v_fmac_f64_e32 v[12:13], v[20:21], v[32:33]
	ds_write_b128 v1, v[10:13] offset:12288
	v_mul_f64 v[10:11], v[4:5], -v[30:31]
	v_mul_f64 v[4:5], v[4:5], v[28:29]
	v_fmac_f64_e32 v[10:11], v[28:29], v[2:3]
	v_fmac_f64_e32 v[4:5], v[30:31], v[2:3]
	v_mul_f64 v[2:3], v[18:19], -v[26:27]
	v_mul_f64 v[12:13], v[18:19], v[24:25]
	v_fmac_f64_e32 v[2:3], v[24:25], v[16:17]
	v_fmac_f64_e32 v[12:13], v[26:27], v[16:17]
	v_add_f64 v[10:11], v[10:11], -v[2:3]
	v_add_f64 v[12:13], v[4:5], -v[12:13]
	v_mul_f64 v[2:3], v[34:35], -v[12:13]
	v_mul_f64 v[4:5], v[34:35], v[10:11]
	v_fmac_f64_e32 v[2:3], v[10:11], v[32:33]
	v_fmac_f64_e32 v[4:5], v[12:13], v[32:33]
.LBB78_13:
	s_or_b64 exec, exec, s[6:7]
	v_lshlrev_b32_e32 v1, 4, v6
	ds_write_b128 v1, v[2:5] offset:12288
.LBB78_14:
	s_or_b64 exec, exec, s[4:5]
	s_waitcnt lgkmcnt(0)
	s_barrier
	s_and_saveexec_b64 s[4:5], s[0:1]
	s_cbranch_execz .LBB78_16
; %bb.15:
	v_mov_b32_e32 v1, 0x3000
	v_lshl_or_b32 v0, v0, 4, v1
	ds_read2_b64 v[0:3], v0 offset1:1
	v_lshlrev_b64 v[4:5], 4, v[8:9]
	v_mov_b32_e32 v6, s3
	v_add_co_u32_e32 v4, vcc, s2, v4
	v_addc_co_u32_e32 v5, vcc, v6, v5, vcc
	s_waitcnt lgkmcnt(0)
	global_store_dwordx4 v[4:5], v[0:3], off
.LBB78_16:
	s_endpgm
	.section	.rodata,"a",@progbits
	.p2align	6, 0x0
	.amdhsa_kernel _ZN9rocsparseL44gtsv_nopivot_strided_batch_pcr_shared_kernelILj256E21rocsparse_complex_numIdEEEviiiPKT0_S5_S5_PS3_
		.amdhsa_group_segment_fixed_size 20480
		.amdhsa_private_segment_fixed_size 0
		.amdhsa_kernarg_size 48
		.amdhsa_user_sgpr_count 6
		.amdhsa_user_sgpr_private_segment_buffer 1
		.amdhsa_user_sgpr_dispatch_ptr 0
		.amdhsa_user_sgpr_queue_ptr 0
		.amdhsa_user_sgpr_kernarg_segment_ptr 1
		.amdhsa_user_sgpr_dispatch_id 0
		.amdhsa_user_sgpr_flat_scratch_init 0
		.amdhsa_user_sgpr_kernarg_preload_length 0
		.amdhsa_user_sgpr_kernarg_preload_offset 0
		.amdhsa_user_sgpr_private_segment_size 0
		.amdhsa_uses_dynamic_stack 0
		.amdhsa_system_sgpr_private_segment_wavefront_offset 0
		.amdhsa_system_sgpr_workgroup_id_x 1
		.amdhsa_system_sgpr_workgroup_id_y 0
		.amdhsa_system_sgpr_workgroup_id_z 0
		.amdhsa_system_sgpr_workgroup_info 0
		.amdhsa_system_vgpr_workitem_id 0
		.amdhsa_next_free_vgpr 44
		.amdhsa_next_free_sgpr 10
		.amdhsa_accum_offset 44
		.amdhsa_reserve_vcc 1
		.amdhsa_reserve_flat_scratch 0
		.amdhsa_float_round_mode_32 0
		.amdhsa_float_round_mode_16_64 0
		.amdhsa_float_denorm_mode_32 3
		.amdhsa_float_denorm_mode_16_64 3
		.amdhsa_dx10_clamp 1
		.amdhsa_ieee_mode 1
		.amdhsa_fp16_overflow 0
		.amdhsa_tg_split 0
		.amdhsa_exception_fp_ieee_invalid_op 0
		.amdhsa_exception_fp_denorm_src 0
		.amdhsa_exception_fp_ieee_div_zero 0
		.amdhsa_exception_fp_ieee_overflow 0
		.amdhsa_exception_fp_ieee_underflow 0
		.amdhsa_exception_fp_ieee_inexact 0
		.amdhsa_exception_int_div_zero 0
	.end_amdhsa_kernel
	.section	.text._ZN9rocsparseL44gtsv_nopivot_strided_batch_pcr_shared_kernelILj256E21rocsparse_complex_numIdEEEviiiPKT0_S5_S5_PS3_,"axG",@progbits,_ZN9rocsparseL44gtsv_nopivot_strided_batch_pcr_shared_kernelILj256E21rocsparse_complex_numIdEEEviiiPKT0_S5_S5_PS3_,comdat
.Lfunc_end78:
	.size	_ZN9rocsparseL44gtsv_nopivot_strided_batch_pcr_shared_kernelILj256E21rocsparse_complex_numIdEEEviiiPKT0_S5_S5_PS3_, .Lfunc_end78-_ZN9rocsparseL44gtsv_nopivot_strided_batch_pcr_shared_kernelILj256E21rocsparse_complex_numIdEEEviiiPKT0_S5_S5_PS3_
                                        ; -- End function
	.section	.AMDGPU.csdata,"",@progbits
; Kernel info:
; codeLenInByte = 5948
; NumSgprs: 14
; NumVgprs: 44
; NumAgprs: 0
; TotalNumVgprs: 44
; ScratchSize: 0
; MemoryBound: 1
; FloatMode: 240
; IeeeMode: 1
; LDSByteSize: 20480 bytes/workgroup (compile time only)
; SGPRBlocks: 1
; VGPRBlocks: 5
; NumSGPRsForWavesPerEU: 14
; NumVGPRsForWavesPerEU: 44
; AccumOffset: 44
; Occupancy: 3
; WaveLimiterHint : 0
; COMPUTE_PGM_RSRC2:SCRATCH_EN: 0
; COMPUTE_PGM_RSRC2:USER_SGPR: 6
; COMPUTE_PGM_RSRC2:TRAP_HANDLER: 0
; COMPUTE_PGM_RSRC2:TGID_X_EN: 1
; COMPUTE_PGM_RSRC2:TGID_Y_EN: 0
; COMPUTE_PGM_RSRC2:TGID_Z_EN: 0
; COMPUTE_PGM_RSRC2:TIDIG_COMP_CNT: 0
; COMPUTE_PGM_RSRC3_GFX90A:ACCUM_OFFSET: 10
; COMPUTE_PGM_RSRC3_GFX90A:TG_SPLIT: 0
	.section	.text._ZN9rocsparseL44gtsv_nopivot_strided_batch_pcr_shared_kernelILj512E21rocsparse_complex_numIdEEEviiiPKT0_S5_S5_PS3_,"axG",@progbits,_ZN9rocsparseL44gtsv_nopivot_strided_batch_pcr_shared_kernelILj512E21rocsparse_complex_numIdEEEviiiPKT0_S5_S5_PS3_,comdat
	.globl	_ZN9rocsparseL44gtsv_nopivot_strided_batch_pcr_shared_kernelILj512E21rocsparse_complex_numIdEEEviiiPKT0_S5_S5_PS3_ ; -- Begin function _ZN9rocsparseL44gtsv_nopivot_strided_batch_pcr_shared_kernelILj512E21rocsparse_complex_numIdEEEviiiPKT0_S5_S5_PS3_
	.p2align	8
	.type	_ZN9rocsparseL44gtsv_nopivot_strided_batch_pcr_shared_kernelILj512E21rocsparse_complex_numIdEEEviiiPKT0_S5_S5_PS3_,@function
_ZN9rocsparseL44gtsv_nopivot_strided_batch_pcr_shared_kernelILj512E21rocsparse_complex_numIdEEEviiiPKT0_S5_S5_PS3_: ; @_ZN9rocsparseL44gtsv_nopivot_strided_batch_pcr_shared_kernelILj512E21rocsparse_complex_numIdEEEviiiPKT0_S5_S5_PS3_
; %bb.0:
	s_load_dword s0, s[4:5], 0x8
	s_load_dword s8, s[4:5], 0x0
	v_pk_mov_b32 v[2:3], 0, 0
	v_pk_mov_b32 v[4:5], v[2:3], v[2:3] op_sel:[0,1]
	v_pk_mov_b32 v[6:7], v[2:3], v[2:3] op_sel:[0,1]
	s_waitcnt lgkmcnt(0)
	s_mul_i32 s6, s6, s0
	v_add_u32_e32 v8, s6, v0
	v_cmp_gt_i32_e64 s[0:1], s8, v0
	v_ashrrev_i32_e32 v9, 31, v8
	s_and_saveexec_b64 s[2:3], s[0:1]
	s_cbranch_execz .LBB79_2
; %bb.1:
	s_load_dwordx2 s[6:7], s[4:5], 0x10
	v_lshlrev_b64 v[4:5], 4, v[8:9]
	s_waitcnt lgkmcnt(0)
	v_mov_b32_e32 v1, s7
	v_add_co_u32_e32 v4, vcc, s6, v4
	v_addc_co_u32_e32 v5, vcc, v1, v5, vcc
	global_load_dwordx4 v[4:7], v[4:5], off
.LBB79_2:
	s_or_b64 exec, exec, s[2:3]
	v_lshlrev_b32_e32 v1, 4, v0
	s_waitcnt vmcnt(0)
	ds_write_b128 v1, v[4:7]
	v_pk_mov_b32 v[4:5], v[2:3], v[2:3] op_sel:[0,1]
	s_and_saveexec_b64 s[2:3], s[0:1]
	s_cbranch_execz .LBB79_4
; %bb.3:
	s_load_dwordx2 s[6:7], s[4:5], 0x18
	v_lshlrev_b64 v[2:3], 4, v[8:9]
	s_waitcnt lgkmcnt(0)
	v_mov_b32_e32 v4, s7
	v_add_co_u32_e32 v2, vcc, s6, v2
	v_addc_co_u32_e32 v3, vcc, v4, v3, vcc
	global_load_dwordx4 v[2:5], v[2:3], off
.LBB79_4:
	s_or_b64 exec, exec, s[2:3]
	s_load_dwordx2 s[6:7], s[4:5], 0x28
	s_waitcnt vmcnt(0)
	ds_write_b128 v1, v[2:5] offset:8192
	v_pk_mov_b32 v[2:3], 0, 0
	v_pk_mov_b32 v[4:5], v[2:3], v[2:3] op_sel:[0,1]
	v_pk_mov_b32 v[6:7], v[2:3], v[2:3] op_sel:[0,1]
	s_and_saveexec_b64 s[2:3], s[0:1]
	s_cbranch_execz .LBB79_6
; %bb.5:
	s_load_dwordx2 s[4:5], s[4:5], 0x20
	v_lshlrev_b64 v[4:5], 4, v[8:9]
	s_waitcnt lgkmcnt(0)
	v_mov_b32_e32 v6, s5
	v_add_co_u32_e32 v4, vcc, s4, v4
	v_addc_co_u32_e32 v5, vcc, v6, v5, vcc
	global_load_dwordx4 v[4:7], v[4:5], off
.LBB79_6:
	s_or_b64 exec, exec, s[2:3]
	s_waitcnt vmcnt(0)
	ds_write_b128 v1, v[4:7] offset:16384
	v_pk_mov_b32 v[4:5], v[2:3], v[2:3] op_sel:[0,1]
	s_and_saveexec_b64 s[2:3], s[0:1]
	s_cbranch_execz .LBB79_8
; %bb.7:
	v_lshlrev_b64 v[2:3], 4, v[8:9]
	s_waitcnt lgkmcnt(0)
	v_mov_b32_e32 v4, s7
	v_add_co_u32_e32 v2, vcc, s6, v2
	v_addc_co_u32_e32 v3, vcc, v4, v3, vcc
	global_load_dwordx4 v[2:5], v[2:3], off
.LBB79_8:
	s_or_b64 exec, exec, s[2:3]
	s_add_i32 s2, s8, -1
	v_or_b32_e32 v10, 0x2000, v1
	v_or_b32_e32 v7, 0x4000, v1
	;; [unrolled: 1-line block ×3, first 2 shown]
	s_mov_b32 s4, 1
	s_mov_b32 s5, 8
	v_mov_b32_e32 v11, s2
	s_waitcnt vmcnt(0)
	ds_write_b128 v1, v[2:5] offset:32768
	s_waitcnt lgkmcnt(0)
	s_barrier
.LBB79_9:                               ; =>This Inner Loop Header: Depth=1
	v_add_u32_e32 v24, s4, v0
	v_subrev_u32_e32 v25, s4, v0
	v_cmp_gt_i32_e32 vcc, s8, v24
	v_cndmask_b32_e32 v24, v11, v24, vcc
	v_max_i32_e32 v25, 0, v25
	v_lshlrev_b32_e32 v44, 4, v25
	v_lshlrev_b32_e32 v52, 4, v24
	ds_read_b128 v[2:5], v1
	ds_read_b128 v[12:15], v10
	;; [unrolled: 1-line block ×4, first 2 shown]
	ds_read_b128 v[24:27], v44 offset:8192
	ds_read_b128 v[28:31], v44 offset:16384
	ds_read_b128 v[32:35], v52
	ds_read_b128 v[36:39], v52 offset:32768
	ds_read_b128 v[40:43], v44 offset:32768
	ds_read_b128 v[44:47], v44
	ds_read_b128 v[48:51], v52 offset:8192
	ds_read_b128 v[52:55], v52 offset:16384
	s_waitcnt lgkmcnt(7)
	v_mul_f64 v[56:57], v[26:27], v[26:27]
	v_mul_f64 v[58:59], v[26:27], v[4:5]
	v_fmac_f64_e32 v[56:57], v[24:25], v[24:25]
	s_waitcnt lgkmcnt(1)
	v_mul_f64 v[60:61], v[50:51], v[50:51]
	v_mul_f64 v[26:27], v[26:27], -v[2:3]
	v_mul_f64 v[62:63], v[50:51], v[18:19]
	v_fmac_f64_e32 v[58:59], v[2:3], v[24:25]
	v_fmac_f64_e32 v[60:61], v[48:49], v[48:49]
	v_div_scale_f64 v[2:3], s[2:3], v[56:57], v[56:57], 1.0
	v_mul_f64 v[50:51], v[50:51], -v[16:17]
	v_fmac_f64_e32 v[26:27], v[4:5], v[24:25]
	v_fmac_f64_e32 v[62:63], v[16:17], v[48:49]
	v_div_scale_f64 v[16:17], s[2:3], v[60:61], v[60:61], 1.0
	v_rcp_f64_e32 v[24:25], v[2:3]
	v_fmac_f64_e32 v[50:51], v[18:19], v[48:49]
	v_rcp_f64_e32 v[48:49], v[16:17]
	v_div_scale_f64 v[4:5], vcc, 1.0, v[56:57], 1.0
	v_fma_f64 v[64:65], -v[2:3], v[24:25], 1.0
	v_fma_f64 v[66:67], -v[16:17], v[48:49], 1.0
	v_fmac_f64_e32 v[24:25], v[24:25], v[64:65]
	v_fmac_f64_e32 v[48:49], v[48:49], v[66:67]
	v_fma_f64 v[64:65], -v[2:3], v[24:25], 1.0
	v_fma_f64 v[66:67], -v[16:17], v[48:49], 1.0
	v_fmac_f64_e32 v[24:25], v[24:25], v[64:65]
	v_div_scale_f64 v[18:19], s[2:3], 1.0, v[60:61], 1.0
	v_fmac_f64_e32 v[48:49], v[48:49], v[66:67]
	v_mul_f64 v[64:65], v[4:5], v[24:25]
	v_mul_f64 v[66:67], v[18:19], v[48:49]
	v_fma_f64 v[2:3], -v[2:3], v[64:65], v[4:5]
	v_fma_f64 v[4:5], -v[16:17], v[66:67], v[18:19]
	v_div_fmas_f64 v[2:3], v[2:3], v[24:25], v[64:65]
	s_mov_b64 vcc, s[2:3]
	v_div_fixup_f64 v[2:3], v[2:3], v[56:57], 1.0
	v_div_fmas_f64 v[4:5], v[4:5], v[48:49], v[66:67]
	v_mul_f64 v[16:17], v[2:3], v[58:59]
	v_mul_f64 v[2:3], v[2:3], v[26:27]
	v_div_fixup_f64 v[4:5], v[4:5], v[60:61], 1.0
	v_mul_f64 v[18:19], v[4:5], v[62:63]
	v_mul_f64 v[24:25], v[4:5], v[50:51]
	v_mul_f64 v[26:27], v[2:3], -v[30:31]
	v_mul_f64 v[48:49], v[2:3], v[28:29]
	v_mul_f64 v[50:51], v[2:3], -v[42:43]
	v_mul_f64 v[56:57], v[2:3], v[40:41]
	v_mul_f64 v[4:5], v[2:3], v[46:47]
	v_mul_f64 v[58:59], v[2:3], -v[44:45]
	s_lshl_b32 s4, s4, 1
	s_add_i32 s5, s5, -1
	v_fmac_f64_e32 v[26:27], v[28:29], v[16:17]
	v_fmac_f64_e32 v[48:49], v[30:31], v[16:17]
	v_mul_f64 v[28:29], v[24:25], -v[34:35]
	v_mul_f64 v[30:31], v[24:25], v[32:33]
	v_fmac_f64_e32 v[50:51], v[40:41], v[16:17]
	v_fmac_f64_e32 v[56:57], v[42:43], v[16:17]
	v_mul_f64 v[40:41], v[24:25], -v[38:39]
	v_mul_f64 v[42:43], v[24:25], v[36:37]
	v_fma_f64 v[2:3], -v[44:45], v[16:17], v[4:5]
	v_fma_f64 v[4:5], -v[46:47], v[16:17], v[58:59]
	s_waitcnt lgkmcnt(0)
	v_mul_f64 v[16:17], v[24:25], v[54:55]
	v_mul_f64 v[24:25], v[24:25], -v[52:53]
	s_cmp_eq_u32 s5, 0
	v_add_f64 v[26:27], v[12:13], -v[26:27]
	v_add_f64 v[44:45], v[14:15], -v[48:49]
	v_fmac_f64_e32 v[28:29], v[32:33], v[18:19]
	v_fmac_f64_e32 v[30:31], v[34:35], v[18:19]
	v_add_f64 v[20:21], v[20:21], -v[50:51]
	v_add_f64 v[22:23], v[22:23], -v[56:57]
	v_fmac_f64_e32 v[40:41], v[36:37], v[18:19]
	v_fmac_f64_e32 v[42:43], v[38:39], v[18:19]
	v_fma_f64 v[12:13], -v[52:53], v[18:19], v[16:17]
	v_fma_f64 v[14:15], -v[54:55], v[18:19], v[24:25]
	s_barrier
	ds_write_b128 v1, v[2:5]
	v_add_f64 v[2:3], v[26:27], -v[28:29]
	v_add_f64 v[4:5], v[44:45], -v[30:31]
	;; [unrolled: 1-line block ×4, first 2 shown]
	ds_write_b128 v7, v[12:15]
	ds_write_b128 v10, v[2:5]
	;; [unrolled: 1-line block ×3, first 2 shown]
	s_waitcnt lgkmcnt(0)
	s_barrier
	s_cbranch_scc0 .LBB79_9
; %bb.10:
	s_movk_i32 s2, 0x100
	v_cmp_gt_u32_e32 vcc, s2, v0
	s_and_saveexec_b64 s[2:3], vcc
	s_cbranch_execz .LBB79_16
; %bb.11:
	v_or_b32_e32 v11, 0x100, v0
	v_cmp_le_i32_e32 vcc, s8, v11
                                        ; implicit-def: $vgpr4_vgpr5
	s_and_saveexec_b64 s[4:5], vcc
	s_xor_b64 s[4:5], exec, s[4:5]
	s_cbranch_execz .LBB79_13
; %bb.12:
	ds_read_b128 v[10:13], v10
	ds_read_b128 v[4:7], v6
                                        ; implicit-def: $vgpr1
	s_waitcnt lgkmcnt(1)
	v_mul_f64 v[2:3], v[12:13], v[12:13]
	v_fmac_f64_e32 v[2:3], v[10:11], v[10:11]
	v_div_scale_f64 v[16:17], s[8:9], v[2:3], v[2:3], 1.0
	v_rcp_f64_e32 v[18:19], v[16:17]
	v_div_scale_f64 v[20:21], vcc, 1.0, v[2:3], 1.0
	s_waitcnt lgkmcnt(0)
	v_mul_f64 v[14:15], v[12:13], v[6:7]
	v_fma_f64 v[22:23], -v[16:17], v[18:19], 1.0
	v_fmac_f64_e32 v[18:19], v[18:19], v[22:23]
	v_fma_f64 v[22:23], -v[16:17], v[18:19], 1.0
	v_fmac_f64_e32 v[18:19], v[18:19], v[22:23]
	v_mul_f64 v[22:23], v[20:21], v[18:19]
	v_fma_f64 v[16:17], -v[16:17], v[22:23], v[20:21]
	v_fmac_f64_e32 v[14:15], v[4:5], v[10:11]
	v_div_fmas_f64 v[16:17], v[16:17], v[18:19], v[22:23]
	v_mul_f64 v[4:5], v[12:13], -v[4:5]
	v_div_fixup_f64 v[16:17], v[16:17], v[2:3], 1.0
	v_fmac_f64_e32 v[4:5], v[6:7], v[10:11]
	v_mul_f64 v[2:3], v[16:17], v[14:15]
	v_mul_f64 v[4:5], v[16:17], v[4:5]
                                        ; implicit-def: $vgpr10
                                        ; implicit-def: $vgpr7
                                        ; implicit-def: $vgpr6
                                        ; implicit-def: $vgpr11
.LBB79_13:
	s_or_saveexec_b64 s[4:5], s[4:5]
	v_mov_b32_e32 v12, v0
	s_xor_b64 exec, exec, s[4:5]
	s_cbranch_execz .LBB79_15
; %bb.14:
	ds_read_b128 v[2:5], v10
	ds_read_b128 v[12:15], v10 offset:4096
	ds_read_b128 v[16:19], v1 offset:4096
	ds_read_b128 v[20:23], v7
	s_waitcnt lgkmcnt(2)
	v_mul_f64 v[26:27], v[4:5], v[12:13]
	v_mul_f64 v[24:25], v[4:5], -v[14:15]
	s_waitcnt lgkmcnt(0)
	v_mul_f64 v[30:31], v[18:19], v[20:21]
	v_fmac_f64_e32 v[26:27], v[14:15], v[2:3]
	v_mul_f64 v[28:29], v[18:19], -v[22:23]
	v_fmac_f64_e32 v[30:31], v[22:23], v[16:17]
	v_fmac_f64_e32 v[24:25], v[12:13], v[2:3]
	;; [unrolled: 1-line block ×3, first 2 shown]
	v_add_f64 v[30:31], v[26:27], -v[30:31]
	v_add_f64 v[28:29], v[24:25], -v[28:29]
	v_mul_f64 v[24:25], v[30:31], v[30:31]
	v_fmac_f64_e32 v[24:25], v[28:29], v[28:29]
	v_div_scale_f64 v[26:27], s[8:9], v[24:25], v[24:25], 1.0
	v_rcp_f64_e32 v[32:33], v[26:27]
	v_fma_f64 v[34:35], -v[26:27], v[32:33], 1.0
	v_fmac_f64_e32 v[32:33], v[32:33], v[34:35]
	v_fma_f64 v[34:35], -v[26:27], v[32:33], 1.0
	v_fmac_f64_e32 v[32:33], v[32:33], v[34:35]
	v_div_scale_f64 v[34:35], vcc, 1.0, v[24:25], 1.0
	v_mul_f64 v[36:37], v[34:35], v[32:33]
	v_fma_f64 v[26:27], -v[26:27], v[36:37], v[34:35]
	v_fma_f64 v[34:35], 0, v[30:31], v[28:29]
	s_nop 0
	v_div_fmas_f64 v[26:27], v[26:27], v[32:33], v[36:37]
	v_div_fixup_f64 v[32:33], v[26:27], v[24:25], 1.0
	ds_read_b128 v[24:27], v6
	v_fma_f64 v[28:29], v[28:29], 0, -v[30:31]
	v_mul_f64 v[34:35], v[34:35], v[32:33]
	v_mul_f64 v[32:33], v[28:29], v[32:33]
	ds_read_b128 v[28:31], v6 offset:4096
	s_waitcnt lgkmcnt(1)
	v_mul_f64 v[6:7], v[26:27], -v[14:15]
	v_fmac_f64_e32 v[6:7], v[12:13], v[24:25]
	v_mul_f64 v[12:13], v[12:13], v[26:27]
	v_fmac_f64_e32 v[12:13], v[14:15], v[24:25]
	s_waitcnt lgkmcnt(0)
	v_mul_f64 v[14:15], v[30:31], -v[22:23]
	v_fmac_f64_e32 v[14:15], v[20:21], v[28:29]
	v_mul_f64 v[20:21], v[20:21], v[30:31]
	v_fmac_f64_e32 v[20:21], v[22:23], v[28:29]
	v_add_f64 v[6:7], v[6:7], -v[14:15]
	v_add_f64 v[20:21], v[12:13], -v[20:21]
	v_mul_f64 v[12:13], v[32:33], -v[20:21]
	v_mul_f64 v[14:15], v[32:33], v[6:7]
	v_fmac_f64_e32 v[12:13], v[6:7], v[34:35]
	v_fmac_f64_e32 v[14:15], v[20:21], v[34:35]
	v_mul_f64 v[6:7], v[4:5], -v[30:31]
	v_mul_f64 v[4:5], v[4:5], v[28:29]
	ds_write_b128 v1, v[12:15] offset:24576
	v_fmac_f64_e32 v[6:7], v[28:29], v[2:3]
	v_fmac_f64_e32 v[4:5], v[30:31], v[2:3]
	v_mul_f64 v[2:3], v[18:19], -v[26:27]
	v_mul_f64 v[12:13], v[18:19], v[24:25]
	v_fmac_f64_e32 v[2:3], v[24:25], v[16:17]
	v_fmac_f64_e32 v[12:13], v[26:27], v[16:17]
	v_add_f64 v[6:7], v[6:7], -v[2:3]
	v_add_f64 v[12:13], v[4:5], -v[12:13]
	v_mul_f64 v[2:3], v[32:33], -v[12:13]
	v_mul_f64 v[4:5], v[32:33], v[6:7]
	v_fmac_f64_e32 v[2:3], v[6:7], v[34:35]
	v_fmac_f64_e32 v[4:5], v[12:13], v[34:35]
	v_mov_b32_e32 v12, v11
.LBB79_15:
	s_or_b64 exec, exec, s[4:5]
	v_lshlrev_b32_e32 v1, 4, v12
	ds_write_b128 v1, v[2:5] offset:24576
.LBB79_16:
	s_or_b64 exec, exec, s[2:3]
	s_waitcnt lgkmcnt(0)
	s_barrier
	s_and_saveexec_b64 s[2:3], s[0:1]
	s_cbranch_execz .LBB79_18
; %bb.17:
	v_mov_b32_e32 v1, 0x6000
	v_lshl_or_b32 v0, v0, 4, v1
	ds_read2_b64 v[0:3], v0 offset1:1
	v_lshlrev_b64 v[4:5], 4, v[8:9]
	v_mov_b32_e32 v6, s7
	v_add_co_u32_e32 v4, vcc, s6, v4
	v_addc_co_u32_e32 v5, vcc, v6, v5, vcc
	s_waitcnt lgkmcnt(0)
	global_store_dwordx4 v[4:5], v[0:3], off
.LBB79_18:
	s_endpgm
	.section	.rodata,"a",@progbits
	.p2align	6, 0x0
	.amdhsa_kernel _ZN9rocsparseL44gtsv_nopivot_strided_batch_pcr_shared_kernelILj512E21rocsparse_complex_numIdEEEviiiPKT0_S5_S5_PS3_
		.amdhsa_group_segment_fixed_size 40960
		.amdhsa_private_segment_fixed_size 0
		.amdhsa_kernarg_size 48
		.amdhsa_user_sgpr_count 6
		.amdhsa_user_sgpr_private_segment_buffer 1
		.amdhsa_user_sgpr_dispatch_ptr 0
		.amdhsa_user_sgpr_queue_ptr 0
		.amdhsa_user_sgpr_kernarg_segment_ptr 1
		.amdhsa_user_sgpr_dispatch_id 0
		.amdhsa_user_sgpr_flat_scratch_init 0
		.amdhsa_user_sgpr_kernarg_preload_length 0
		.amdhsa_user_sgpr_kernarg_preload_offset 0
		.amdhsa_user_sgpr_private_segment_size 0
		.amdhsa_uses_dynamic_stack 0
		.amdhsa_system_sgpr_private_segment_wavefront_offset 0
		.amdhsa_system_sgpr_workgroup_id_x 1
		.amdhsa_system_sgpr_workgroup_id_y 0
		.amdhsa_system_sgpr_workgroup_id_z 0
		.amdhsa_system_sgpr_workgroup_info 0
		.amdhsa_system_vgpr_workitem_id 0
		.amdhsa_next_free_vgpr 68
		.amdhsa_next_free_sgpr 10
		.amdhsa_accum_offset 68
		.amdhsa_reserve_vcc 1
		.amdhsa_reserve_flat_scratch 0
		.amdhsa_float_round_mode_32 0
		.amdhsa_float_round_mode_16_64 0
		.amdhsa_float_denorm_mode_32 3
		.amdhsa_float_denorm_mode_16_64 3
		.amdhsa_dx10_clamp 1
		.amdhsa_ieee_mode 1
		.amdhsa_fp16_overflow 0
		.amdhsa_tg_split 0
		.amdhsa_exception_fp_ieee_invalid_op 0
		.amdhsa_exception_fp_denorm_src 0
		.amdhsa_exception_fp_ieee_div_zero 0
		.amdhsa_exception_fp_ieee_overflow 0
		.amdhsa_exception_fp_ieee_underflow 0
		.amdhsa_exception_fp_ieee_inexact 0
		.amdhsa_exception_int_div_zero 0
	.end_amdhsa_kernel
	.section	.text._ZN9rocsparseL44gtsv_nopivot_strided_batch_pcr_shared_kernelILj512E21rocsparse_complex_numIdEEEviiiPKT0_S5_S5_PS3_,"axG",@progbits,_ZN9rocsparseL44gtsv_nopivot_strided_batch_pcr_shared_kernelILj512E21rocsparse_complex_numIdEEEviiiPKT0_S5_S5_PS3_,comdat
.Lfunc_end79:
	.size	_ZN9rocsparseL44gtsv_nopivot_strided_batch_pcr_shared_kernelILj512E21rocsparse_complex_numIdEEEviiiPKT0_S5_S5_PS3_, .Lfunc_end79-_ZN9rocsparseL44gtsv_nopivot_strided_batch_pcr_shared_kernelILj512E21rocsparse_complex_numIdEEEviiiPKT0_S5_S5_PS3_
                                        ; -- End function
	.section	.AMDGPU.csdata,"",@progbits
; Kernel info:
; codeLenInByte = 1836
; NumSgprs: 14
; NumVgprs: 68
; NumAgprs: 0
; TotalNumVgprs: 68
; ScratchSize: 0
; MemoryBound: 1
; FloatMode: 240
; IeeeMode: 1
; LDSByteSize: 40960 bytes/workgroup (compile time only)
; SGPRBlocks: 1
; VGPRBlocks: 8
; NumSGPRsForWavesPerEU: 14
; NumVGPRsForWavesPerEU: 68
; AccumOffset: 68
; Occupancy: 2
; WaveLimiterHint : 0
; COMPUTE_PGM_RSRC2:SCRATCH_EN: 0
; COMPUTE_PGM_RSRC2:USER_SGPR: 6
; COMPUTE_PGM_RSRC2:TRAP_HANDLER: 0
; COMPUTE_PGM_RSRC2:TGID_X_EN: 1
; COMPUTE_PGM_RSRC2:TGID_Y_EN: 0
; COMPUTE_PGM_RSRC2:TGID_Z_EN: 0
; COMPUTE_PGM_RSRC2:TIDIG_COMP_CNT: 0
; COMPUTE_PGM_RSRC3_GFX90A:ACCUM_OFFSET: 16
; COMPUTE_PGM_RSRC3_GFX90A:TG_SPLIT: 0
	.section	.text._ZN9rocsparseL49gtsv_nopivot_strided_batch_pcr_pow2_stage1_kernelILj256E21rocsparse_complex_numIdEEEviiiiPKT0_S5_S5_S5_PS3_S6_S6_S6_,"axG",@progbits,_ZN9rocsparseL49gtsv_nopivot_strided_batch_pcr_pow2_stage1_kernelILj256E21rocsparse_complex_numIdEEEviiiiPKT0_S5_S5_S5_PS3_S6_S6_S6_,comdat
	.globl	_ZN9rocsparseL49gtsv_nopivot_strided_batch_pcr_pow2_stage1_kernelILj256E21rocsparse_complex_numIdEEEviiiiPKT0_S5_S5_S5_PS3_S6_S6_S6_ ; -- Begin function _ZN9rocsparseL49gtsv_nopivot_strided_batch_pcr_pow2_stage1_kernelILj256E21rocsparse_complex_numIdEEEviiiiPKT0_S5_S5_S5_PS3_S6_S6_S6_
	.p2align	8
	.type	_ZN9rocsparseL49gtsv_nopivot_strided_batch_pcr_pow2_stage1_kernelILj256E21rocsparse_complex_numIdEEEviiiiPKT0_S5_S5_S5_PS3_S6_S6_S6_,@function
_ZN9rocsparseL49gtsv_nopivot_strided_batch_pcr_pow2_stage1_kernelILj256E21rocsparse_complex_numIdEEEviiiiPKT0_S5_S5_S5_PS3_S6_S6_S6_: ; @_ZN9rocsparseL49gtsv_nopivot_strided_batch_pcr_pow2_stage1_kernelILj256E21rocsparse_complex_numIdEEEviiiiPKT0_S5_S5_S5_PS3_S6_S6_S6_
; %bb.0:
	s_load_dwordx2 s[24:25], s[4:5], 0x0
	s_load_dwordx8 s[16:23], s[4:5], 0x30
	s_load_dword s2, s[4:5], 0xc
	s_load_dwordx8 s[8:15], s[4:5], 0x10
	v_lshl_or_b32 v4, s6, 8, v0
	s_waitcnt lgkmcnt(0)
	s_mul_i32 s0, s7, s25
	s_ashr_i32 s1, s0, 31
	s_add_i32 s6, s25, -1
	s_lshl_b64 s[26:27], s[0:1], 4
	s_add_u32 s4, s22, s26
	s_mul_i32 s0, s7, s2
	s_addc_u32 s5, s23, s27
	s_ashr_i32 s1, s0, 31
	s_lshl_b64 s[22:23], s[0:1], 4
	s_add_u32 s14, s14, s22
	s_addc_u32 s15, s15, s23
	s_add_u32 s2, s20, s26
	s_addc_u32 s3, s21, s27
	;; [unrolled: 2-line block ×4, first 2 shown]
	v_subrev_u32_e32 v0, s24, v4
	s_add_u32 s10, s10, s22
	v_max_i32_e32 v0, 0, v0
	v_mov_b32_e32 v1, 0
	s_addc_u32 s11, s11, s23
	v_lshlrev_b64 v[14:15], 4, v[0:1]
	v_mov_b32_e32 v1, s11
	v_add_co_u32_e32 v0, vcc, s10, v14
	v_addc_co_u32_e32 v1, vcc, v1, v15, vcc
	global_load_dwordx4 v[0:3], v[0:1], off
	v_add_u32_e32 v5, s24, v4
	v_mov_b32_e32 v6, s6
	s_add_u32 s6, s16, s26
	v_cmp_gt_i32_e32 vcc, s25, v5
	s_addc_u32 s7, s17, s27
	v_cndmask_b32_e32 v8, v6, v5, vcc
	s_add_u32 s8, s8, s22
	v_ashrrev_i32_e32 v5, 31, v4
	s_addc_u32 s9, s9, s23
	v_lshlrev_b64 v[12:13], 4, v[4:5]
	v_mov_b32_e32 v5, s9
	v_add_co_u32_e32 v4, vcc, s8, v12
	v_ashrrev_i32_e32 v9, 31, v8
	v_addc_co_u32_e32 v5, vcc, v5, v13, vcc
	v_lshlrev_b64 v[48:49], 4, v[8:9]
	v_mov_b32_e32 v9, s11
	v_add_co_u32_e32 v8, vcc, s10, v48
	global_load_dwordx4 v[4:7], v[4:5], off
	v_addc_co_u32_e32 v9, vcc, v9, v49, vcc
	global_load_dwordx4 v[8:11], v[8:9], off
	v_mov_b32_e32 v16, s1
	v_add_co_u32_e32 v24, vcc, s0, v12
	v_addc_co_u32_e32 v25, vcc, v16, v13, vcc
	v_mov_b32_e32 v17, s1
	v_add_co_u32_e32 v26, vcc, s0, v14
	v_addc_co_u32_e32 v27, vcc, v17, v15, vcc
	global_load_dwordx4 v[16:19], v[24:25], off
	global_load_dwordx4 v[20:23], v[26:27], off
	v_mov_b32_e32 v25, s11
	v_add_co_u32_e32 v24, vcc, s10, v12
	v_addc_co_u32_e32 v25, vcc, v25, v13, vcc
	v_mov_b32_e32 v29, s9
	v_add_co_u32_e32 v28, vcc, s8, v48
	v_addc_co_u32_e32 v29, vcc, v29, v49, vcc
	v_mov_b32_e32 v32, s15
	global_load_dwordx4 v[28:31], v[28:29], off
	v_add_co_u32_e32 v40, vcc, s14, v48
	global_load_dwordx4 v[24:27], v[24:25], off
	v_addc_co_u32_e32 v41, vcc, v32, v49, vcc
	v_mov_b32_e32 v33, s15
	v_add_co_u32_e32 v42, vcc, s14, v14
	v_addc_co_u32_e32 v43, vcc, v33, v15, vcc
	v_mov_b32_e32 v44, s15
	global_load_dwordx4 v[32:35], v[40:41], off
	global_load_dwordx4 v[36:39], v[42:43], off
	v_add_co_u32_e32 v40, vcc, s14, v12
	v_addc_co_u32_e32 v41, vcc, v44, v13, vcc
	global_load_dwordx4 v[40:43], v[40:41], off
	v_mov_b32_e32 v46, s9
	v_add_co_u32_e32 v14, vcc, s8, v14
	v_addc_co_u32_e32 v15, vcc, v46, v15, vcc
	v_mov_b32_e32 v50, s1
	v_add_co_u32_e64 v48, s[0:1], s0, v48
	v_addc_co_u32_e64 v49, s[0:1], v50, v49, s[0:1]
	global_load_dwordx4 v[48:51], v[48:49], off
	s_waitcnt vmcnt(10)
	v_mul_f64 v[52:53], v[2:3], v[2:3]
	v_fmac_f64_e32 v[52:53], v[0:1], v[0:1]
	v_div_scale_f64 v[54:55], s[10:11], v[52:53], v[52:53], 1.0
	v_rcp_f64_e32 v[56:57], v[54:55]
	v_fma_f64 v[44:45], -v[54:55], v[56:57], 1.0
	v_fmac_f64_e32 v[56:57], v[56:57], v[44:45]
	global_load_dwordx4 v[44:47], v[14:15], off
	v_fma_f64 v[14:15], -v[54:55], v[56:57], 1.0
	v_fmac_f64_e32 v[56:57], v[56:57], v[14:15]
	v_div_scale_f64 v[14:15], vcc, 1.0, v[52:53], 1.0
	v_mul_f64 v[58:59], v[14:15], v[56:57]
	v_fma_f64 v[14:15], -v[54:55], v[58:59], v[14:15]
	s_waitcnt vmcnt(10)
	v_mul_f64 v[54:55], v[2:3], v[6:7]
	v_mul_f64 v[2:3], v[2:3], -v[4:5]
	v_fmac_f64_e32 v[54:55], v[4:5], v[0:1]
	v_fmac_f64_e32 v[2:3], v[6:7], v[0:1]
	s_waitcnt vmcnt(9)
	v_mul_f64 v[0:1], v[10:11], v[10:11]
	v_fmac_f64_e32 v[0:1], v[8:9], v[8:9]
	v_div_scale_f64 v[4:5], s[0:1], v[0:1], v[0:1], 1.0
	v_rcp_f64_e32 v[6:7], v[4:5]
	v_div_fmas_f64 v[14:15], v[14:15], v[56:57], v[58:59]
	v_div_fixup_f64 v[14:15], v[14:15], v[52:53], 1.0
	v_mul_f64 v[52:53], v[14:15], v[54:55]
	v_mul_f64 v[14:15], v[14:15], v[2:3]
	v_fma_f64 v[2:3], -v[4:5], v[6:7], 1.0
	v_fmac_f64_e32 v[6:7], v[6:7], v[2:3]
	v_fma_f64 v[2:3], -v[4:5], v[6:7], 1.0
	v_fmac_f64_e32 v[6:7], v[6:7], v[2:3]
	v_div_scale_f64 v[2:3], vcc, 1.0, v[0:1], 1.0
	v_mul_f64 v[54:55], v[2:3], v[6:7]
	v_fma_f64 v[2:3], -v[4:5], v[54:55], v[2:3]
	s_nop 1
	v_div_fmas_f64 v[2:3], v[2:3], v[6:7], v[54:55]
	v_div_fixup_f64 v[0:1], v[2:3], v[0:1], 1.0
	s_waitcnt vmcnt(8)
	v_mul_f64 v[2:3], v[10:11], v[18:19]
	v_fmac_f64_e32 v[2:3], v[16:17], v[8:9]
	v_mul_f64 v[4:5], v[0:1], v[2:3]
	v_mul_f64 v[2:3], v[10:11], -v[16:17]
	v_fmac_f64_e32 v[2:3], v[18:19], v[8:9]
	v_mul_f64 v[6:7], v[0:1], v[2:3]
	s_waitcnt vmcnt(7)
	v_mul_f64 v[0:1], v[14:15], -v[22:23]
	v_fmac_f64_e32 v[0:1], v[20:21], v[52:53]
	v_mul_f64 v[2:3], v[14:15], v[20:21]
	s_waitcnt vmcnt(6)
	v_mul_f64 v[8:9], v[6:7], -v[30:31]
	v_fmac_f64_e32 v[2:3], v[22:23], v[52:53]
	s_waitcnt vmcnt(5)
	v_add_f64 v[0:1], v[24:25], -v[0:1]
	v_fmac_f64_e32 v[8:9], v[28:29], v[4:5]
	v_mul_f64 v[10:11], v[6:7], v[28:29]
	v_add_f64 v[2:3], v[26:27], -v[2:3]
	v_fmac_f64_e32 v[10:11], v[30:31], v[4:5]
	v_add_f64 v[0:1], v[0:1], -v[8:9]
	v_mov_b32_e32 v9, s13
	v_add_co_u32_e32 v8, vcc, s12, v12
	v_add_f64 v[2:3], v[2:3], -v[10:11]
	v_addc_co_u32_e32 v9, vcc, v9, v13, vcc
	global_store_dwordx4 v[8:9], v[0:3], off
	s_waitcnt vmcnt(5)
	v_mul_f64 v[8:9], v[6:7], -v[34:35]
	s_waitcnt vmcnt(4)
	v_mul_f64 v[0:1], v[14:15], -v[38:39]
	v_fmac_f64_e32 v[0:1], v[36:37], v[52:53]
	v_mul_f64 v[2:3], v[14:15], v[36:37]
	v_fmac_f64_e32 v[2:3], v[38:39], v[52:53]
	s_waitcnt vmcnt(3)
	v_add_f64 v[0:1], v[40:41], -v[0:1]
	v_fmac_f64_e32 v[8:9], v[32:33], v[4:5]
	v_mul_f64 v[10:11], v[32:33], v[6:7]
	v_add_f64 v[2:3], v[42:43], -v[2:3]
	v_fmac_f64_e32 v[10:11], v[34:35], v[4:5]
	v_add_f64 v[0:1], v[0:1], -v[8:9]
	v_mov_b32_e32 v9, s5
	v_add_co_u32_e32 v8, vcc, s4, v12
	v_add_f64 v[2:3], v[2:3], -v[10:11]
	v_addc_co_u32_e32 v9, vcc, v9, v13, vcc
	global_store_dwordx4 v[8:9], v[0:3], off
	v_mov_b32_e32 v9, s7
	v_add_co_u32_e32 v8, vcc, s6, v12
	s_waitcnt vmcnt(2)
	v_mul_f64 v[0:1], v[14:15], v[46:47]
	v_mul_f64 v[2:3], v[14:15], -v[44:45]
	v_fma_f64 v[0:1], -v[44:45], v[52:53], v[0:1]
	v_fma_f64 v[2:3], -v[46:47], v[52:53], v[2:3]
	v_addc_co_u32_e32 v9, vcc, v9, v13, vcc
	global_store_dwordx4 v[8:9], v[0:3], off
	s_nop 0
	v_mul_f64 v[0:1], v[6:7], v[50:51]
	v_mul_f64 v[2:3], v[6:7], -v[48:49]
	v_fma_f64 v[0:1], -v[48:49], v[4:5], v[0:1]
	v_fma_f64 v[2:3], -v[50:51], v[4:5], v[2:3]
	v_mov_b32_e32 v5, s3
	v_add_co_u32_e32 v4, vcc, s2, v12
	v_addc_co_u32_e32 v5, vcc, v5, v13, vcc
	global_store_dwordx4 v[4:5], v[0:3], off
	s_endpgm
	.section	.rodata,"a",@progbits
	.p2align	6, 0x0
	.amdhsa_kernel _ZN9rocsparseL49gtsv_nopivot_strided_batch_pcr_pow2_stage1_kernelILj256E21rocsparse_complex_numIdEEEviiiiPKT0_S5_S5_S5_PS3_S6_S6_S6_
		.amdhsa_group_segment_fixed_size 0
		.amdhsa_private_segment_fixed_size 0
		.amdhsa_kernarg_size 80
		.amdhsa_user_sgpr_count 6
		.amdhsa_user_sgpr_private_segment_buffer 1
		.amdhsa_user_sgpr_dispatch_ptr 0
		.amdhsa_user_sgpr_queue_ptr 0
		.amdhsa_user_sgpr_kernarg_segment_ptr 1
		.amdhsa_user_sgpr_dispatch_id 0
		.amdhsa_user_sgpr_flat_scratch_init 0
		.amdhsa_user_sgpr_kernarg_preload_length 0
		.amdhsa_user_sgpr_kernarg_preload_offset 0
		.amdhsa_user_sgpr_private_segment_size 0
		.amdhsa_uses_dynamic_stack 0
		.amdhsa_system_sgpr_private_segment_wavefront_offset 0
		.amdhsa_system_sgpr_workgroup_id_x 1
		.amdhsa_system_sgpr_workgroup_id_y 1
		.amdhsa_system_sgpr_workgroup_id_z 0
		.amdhsa_system_sgpr_workgroup_info 0
		.amdhsa_system_vgpr_workitem_id 0
		.amdhsa_next_free_vgpr 60
		.amdhsa_next_free_sgpr 28
		.amdhsa_accum_offset 60
		.amdhsa_reserve_vcc 1
		.amdhsa_reserve_flat_scratch 0
		.amdhsa_float_round_mode_32 0
		.amdhsa_float_round_mode_16_64 0
		.amdhsa_float_denorm_mode_32 3
		.amdhsa_float_denorm_mode_16_64 3
		.amdhsa_dx10_clamp 1
		.amdhsa_ieee_mode 1
		.amdhsa_fp16_overflow 0
		.amdhsa_tg_split 0
		.amdhsa_exception_fp_ieee_invalid_op 0
		.amdhsa_exception_fp_denorm_src 0
		.amdhsa_exception_fp_ieee_div_zero 0
		.amdhsa_exception_fp_ieee_overflow 0
		.amdhsa_exception_fp_ieee_underflow 0
		.amdhsa_exception_fp_ieee_inexact 0
		.amdhsa_exception_int_div_zero 0
	.end_amdhsa_kernel
	.section	.text._ZN9rocsparseL49gtsv_nopivot_strided_batch_pcr_pow2_stage1_kernelILj256E21rocsparse_complex_numIdEEEviiiiPKT0_S5_S5_S5_PS3_S6_S6_S6_,"axG",@progbits,_ZN9rocsparseL49gtsv_nopivot_strided_batch_pcr_pow2_stage1_kernelILj256E21rocsparse_complex_numIdEEEviiiiPKT0_S5_S5_S5_PS3_S6_S6_S6_,comdat
.Lfunc_end80:
	.size	_ZN9rocsparseL49gtsv_nopivot_strided_batch_pcr_pow2_stage1_kernelILj256E21rocsparse_complex_numIdEEEviiiiPKT0_S5_S5_S5_PS3_S6_S6_S6_, .Lfunc_end80-_ZN9rocsparseL49gtsv_nopivot_strided_batch_pcr_pow2_stage1_kernelILj256E21rocsparse_complex_numIdEEEviiiiPKT0_S5_S5_S5_PS3_S6_S6_S6_
                                        ; -- End function
	.section	.AMDGPU.csdata,"",@progbits
; Kernel info:
; codeLenInByte = 1060
; NumSgprs: 32
; NumVgprs: 60
; NumAgprs: 0
; TotalNumVgprs: 60
; ScratchSize: 0
; MemoryBound: 0
; FloatMode: 240
; IeeeMode: 1
; LDSByteSize: 0 bytes/workgroup (compile time only)
; SGPRBlocks: 3
; VGPRBlocks: 7
; NumSGPRsForWavesPerEU: 32
; NumVGPRsForWavesPerEU: 60
; AccumOffset: 60
; Occupancy: 8
; WaveLimiterHint : 0
; COMPUTE_PGM_RSRC2:SCRATCH_EN: 0
; COMPUTE_PGM_RSRC2:USER_SGPR: 6
; COMPUTE_PGM_RSRC2:TRAP_HANDLER: 0
; COMPUTE_PGM_RSRC2:TGID_X_EN: 1
; COMPUTE_PGM_RSRC2:TGID_Y_EN: 1
; COMPUTE_PGM_RSRC2:TGID_Z_EN: 0
; COMPUTE_PGM_RSRC2:TIDIG_COMP_CNT: 0
; COMPUTE_PGM_RSRC3_GFX90A:ACCUM_OFFSET: 14
; COMPUTE_PGM_RSRC3_GFX90A:TG_SPLIT: 0
	.section	.text._ZN9rocsparseL48gtsv_nopivot_strided_batch_cr_pow2_stage2_kernelILj256E21rocsparse_complex_numIdEEEviiiPKT0_S5_S5_S5_PS3_,"axG",@progbits,_ZN9rocsparseL48gtsv_nopivot_strided_batch_cr_pow2_stage2_kernelILj256E21rocsparse_complex_numIdEEEviiiPKT0_S5_S5_S5_PS3_,comdat
	.globl	_ZN9rocsparseL48gtsv_nopivot_strided_batch_cr_pow2_stage2_kernelILj256E21rocsparse_complex_numIdEEEviiiPKT0_S5_S5_S5_PS3_ ; -- Begin function _ZN9rocsparseL48gtsv_nopivot_strided_batch_cr_pow2_stage2_kernelILj256E21rocsparse_complex_numIdEEEviiiPKT0_S5_S5_S5_PS3_
	.p2align	8
	.type	_ZN9rocsparseL48gtsv_nopivot_strided_batch_cr_pow2_stage2_kernelILj256E21rocsparse_complex_numIdEEEviiiPKT0_S5_S5_S5_PS3_,@function
_ZN9rocsparseL48gtsv_nopivot_strided_batch_cr_pow2_stage2_kernelILj256E21rocsparse_complex_numIdEEEviiiPKT0_S5_S5_S5_PS3_: ; @_ZN9rocsparseL48gtsv_nopivot_strided_batch_cr_pow2_stage2_kernelILj256E21rocsparse_complex_numIdEEEviiiPKT0_S5_S5_S5_PS3_
; %bb.0:
	s_load_dword s0, s[4:5], 0x38
	s_load_dword s1, s[4:5], 0x0
	s_load_dwordx8 s[8:15], s[4:5], 0x10
	v_mov_b32_e32 v3, 0
	s_waitcnt lgkmcnt(0)
	v_mul_lo_u32 v1, s0, v0
	v_add_u32_e32 v6, s6, v1
	s_mul_i32 s1, s7, s1
	v_add_u32_e32 v2, s1, v6
	v_lshlrev_b64 v[4:5], 4, v[2:3]
	v_mov_b32_e32 v1, s9
	v_add_co_u32_e32 v8, vcc, s8, v4
	v_addc_co_u32_e32 v9, vcc, v1, v5, vcc
	v_mov_b32_e32 v28, s11
	v_add_co_u32_e32 v12, vcc, s10, v4
	v_addc_co_u32_e32 v13, vcc, v28, v5, vcc
	;; [unrolled: 3-line block ×3, first 2 shown]
	v_lshl_add_u32 v7, s0, 8, v6
	v_mov_b32_e32 v36, s15
	v_add_co_u32_e32 v4, vcc, s14, v4
	v_add_u32_e32 v2, s1, v7
	v_addc_co_u32_e32 v5, vcc, v36, v5, vcc
	v_lshlrev_b64 v[2:3], 4, v[2:3]
	global_load_dwordx4 v[20:23], v[4:5], off
	v_add_co_u32_e32 v4, vcc, s8, v2
	global_load_dwordx4 v[8:11], v[8:9], off
	v_addc_co_u32_e32 v5, vcc, v1, v3, vcc
	global_load_dwordx4 v[24:27], v[4:5], off
	v_add_co_u32_e32 v4, vcc, s10, v2
	global_load_dwordx4 v[12:15], v[12:13], off
	v_addc_co_u32_e32 v5, vcc, v28, v3, vcc
	;; [unrolled: 4-line block ×3, first 2 shown]
	global_load_dwordx4 v[32:35], v[4:5], off
	v_add_co_u32_e32 v2, vcc, s14, v2
	v_addc_co_u32_e32 v3, vcc, v36, v3, vcc
	global_load_dwordx4 v[36:39], v[2:3], off
	s_mov_b32 s0, 0
	s_mov_b32 s2, s0
	;; [unrolled: 1-line block ×3, first 2 shown]
	s_movk_i32 s6, 0x100
	s_mov_b32 s1, s0
	v_pk_mov_b32 v[42:43], s[2:3], s[2:3] op_sel:[0,1]
	v_lshlrev_b32_e32 v1, 4, v0
	v_add_u32_e32 v2, 1, v0
	v_pk_mov_b32 v[40:41], s[0:1], s[0:1] op_sel:[0,1]
	v_cmp_gt_u32_e64 s[0:1], s6, v0
	v_or_b32_e32 v3, 0x2000, v1
	v_or_b32_e32 v4, 0x4000, v1
	;; [unrolled: 1-line block ×7, first 2 shown]
	ds_write_b128 v1, v[40:43] offset:24576
	ds_write_b128 v1, v[40:43] offset:28672
	s_waitcnt vmcnt(6)
	ds_write2_b64 v1, v[8:9], v[10:11] offset1:1
	s_waitcnt vmcnt(4)
	ds_write2_b64 v3, v[12:13], v[14:15] offset1:1
	;; [unrolled: 2-line block ×3, first 2 shown]
	ds_write2_b64 v5, v[20:21], v[22:23] offset1:1
	ds_write2_b64 v44, v[24:25], v[26:27] offset1:1
	;; [unrolled: 1-line block ×3, first 2 shown]
	s_waitcnt vmcnt(1)
	ds_write2_b64 v46, v[32:33], v[34:35] offset1:1
	s_waitcnt vmcnt(0)
	ds_write2_b64 v47, v[36:37], v[38:39] offset1:1
	s_waitcnt lgkmcnt(0)
	s_barrier
	s_and_saveexec_b64 s[2:3], s[0:1]
	s_cbranch_execz .LBB81_2
; %bb.1:
	v_lshlrev_b32_e32 v3, 5, v2
	ds_read_b128 v[8:11], v3 offset:8160
	ds_read_b128 v[12:15], v3 offset:8176
	v_lshlrev_b32_e32 v20, 1, v2
	v_min_u32_e32 v24, 0x1ff, v20
	v_add_u32_e32 v40, -16, v3
	s_waitcnt lgkmcnt(1)
	v_mul_f64 v[4:5], v[10:11], v[10:11]
	v_fmac_f64_e32 v[4:5], v[8:9], v[8:9]
	v_div_scale_f64 v[16:17], s[8:9], v[4:5], v[4:5], 1.0
	v_rcp_f64_e32 v[18:19], v[16:17]
	v_subrev_u32_e32 v25, 32, v3
	v_lshlrev_b32_e32 v41, 4, v24
	v_fma_f64 v[20:21], -v[16:17], v[18:19], 1.0
	v_fmac_f64_e32 v[18:19], v[18:19], v[20:21]
	v_fma_f64 v[20:21], -v[16:17], v[18:19], 1.0
	v_fmac_f64_e32 v[18:19], v[18:19], v[20:21]
	v_div_scale_f64 v[20:21], vcc, 1.0, v[4:5], 1.0
	v_mul_f64 v[22:23], v[20:21], v[18:19]
	v_fma_f64 v[16:17], -v[16:17], v[22:23], v[20:21]
	s_nop 1
	v_div_fmas_f64 v[20:21], v[16:17], v[18:19], v[22:23]
	ds_read_b128 v[16:19], v40
	v_div_fixup_f64 v[4:5], v[20:21], v[4:5], 1.0
	ds_read_b128 v[20:23], v25
	ds_read_b128 v[24:27], v41 offset:8192
	s_waitcnt lgkmcnt(2)
	v_mul_f64 v[28:29], v[10:11], v[18:19]
	v_mul_f64 v[10:11], v[10:11], -v[16:17]
	s_waitcnt lgkmcnt(0)
	v_mul_f64 v[34:35], v[26:27], v[26:27]
	v_fmac_f64_e32 v[34:35], v[24:25], v[24:25]
	v_div_scale_f64 v[36:37], s[8:9], v[34:35], v[34:35], 1.0
	v_rcp_f64_e32 v[38:39], v[36:37]
	v_fmac_f64_e32 v[28:29], v[16:17], v[8:9]
	v_fmac_f64_e32 v[10:11], v[18:19], v[8:9]
	v_mul_f64 v[32:33], v[4:5], v[28:29]
	v_fma_f64 v[8:9], -v[36:37], v[38:39], 1.0
	v_fmac_f64_e32 v[38:39], v[38:39], v[8:9]
	v_fma_f64 v[8:9], -v[36:37], v[38:39], 1.0
	v_fmac_f64_e32 v[38:39], v[38:39], v[8:9]
	v_div_scale_f64 v[8:9], vcc, 1.0, v[34:35], 1.0
	v_mul_f64 v[16:17], v[8:9], v[38:39]
	v_mul_f64 v[4:5], v[4:5], v[10:11]
	v_fma_f64 v[18:19], -v[36:37], v[16:17], v[8:9]
	ds_read_b128 v[8:11], v3 offset:16368
	v_div_fmas_f64 v[16:17], v[18:19], v[38:39], v[16:17]
	v_div_fixup_f64 v[34:35], v[16:17], v[34:35], 1.0
	ds_read_b128 v[16:19], v3 offset:16352
	ds_read_b128 v[28:31], v41 offset:16384
	s_waitcnt lgkmcnt(2)
	v_mul_f64 v[36:37], v[26:27], v[10:11]
	v_fmac_f64_e32 v[36:37], v[8:9], v[24:25]
	v_mul_f64 v[8:9], v[26:27], -v[8:9]
	v_fmac_f64_e32 v[8:9], v[10:11], v[24:25]
	v_mul_f64 v[24:25], v[34:35], v[8:9]
	ds_read_b128 v[8:11], v41
	s_waitcnt lgkmcnt(2)
	v_mul_f64 v[26:27], v[4:5], -v[18:19]
	v_fmac_f64_e32 v[26:27], v[16:17], v[32:33]
	v_mul_f64 v[16:17], v[4:5], v[16:17]
	v_fmac_f64_e32 v[16:17], v[18:19], v[32:33]
	v_mul_f64 v[36:37], v[34:35], v[36:37]
	v_add_f64 v[18:19], v[12:13], -v[26:27]
	v_add_f64 v[26:27], v[14:15], -v[16:17]
	ds_read_b128 v[12:15], v41 offset:32768
	s_waitcnt lgkmcnt(1)
	v_mul_f64 v[16:17], v[24:25], -v[10:11]
	v_mul_f64 v[34:35], v[24:25], v[8:9]
	v_fmac_f64_e32 v[16:17], v[8:9], v[36:37]
	v_fmac_f64_e32 v[34:35], v[10:11], v[36:37]
	ds_read_b128 v[8:11], v3 offset:32736
	v_add_f64 v[16:17], v[18:19], -v[16:17]
	v_add_f64 v[18:19], v[26:27], -v[34:35]
	ds_write_b128 v3, v[16:19] offset:8176
	ds_read_b128 v[16:19], v3 offset:32752
	s_waitcnt lgkmcnt(2)
	v_mul_f64 v[26:27], v[4:5], -v[10:11]
	v_fmac_f64_e32 v[26:27], v[8:9], v[32:33]
	v_mul_f64 v[8:9], v[4:5], v[8:9]
	v_fmac_f64_e32 v[8:9], v[10:11], v[32:33]
	s_waitcnt lgkmcnt(0)
	v_add_f64 v[10:11], v[16:17], -v[26:27]
	v_add_f64 v[16:17], v[18:19], -v[8:9]
	v_mul_f64 v[8:9], v[24:25], -v[14:15]
	v_fmac_f64_e32 v[8:9], v[12:13], v[36:37]
	v_mul_f64 v[12:13], v[24:25], v[12:13]
	v_fmac_f64_e32 v[12:13], v[14:15], v[36:37]
	v_add_f64 v[8:9], v[10:11], -v[8:9]
	v_add_f64 v[10:11], v[16:17], -v[12:13]
	ds_write_b128 v3, v[8:11] offset:32752
	v_mul_f64 v[8:9], v[4:5], v[22:23]
	v_mul_f64 v[4:5], v[4:5], -v[20:21]
	v_fma_f64 v[8:9], -v[20:21], v[32:33], v[8:9]
	v_fma_f64 v[10:11], -v[22:23], v[32:33], v[4:5]
	v_mul_f64 v[4:5], v[24:25], v[30:31]
	ds_write_b128 v40, v[8:11]
	v_fma_f64 v[8:9], -v[28:29], v[36:37], v[4:5]
	v_mul_f64 v[4:5], v[24:25], -v[28:29]
	v_fma_f64 v[10:11], -v[30:31], v[36:37], v[4:5]
	ds_write_b128 v3, v[8:11] offset:16368
.LBB81_2:
	s_or_b64 exec, exec, s[2:3]
	s_movk_i32 s2, 0x80
	v_cmp_gt_u32_e64 s[2:3], s2, v0
	s_waitcnt lgkmcnt(0)
	s_barrier
	s_and_saveexec_b64 s[8:9], s[2:3]
	s_cbranch_execz .LBB81_4
; %bb.3:
	v_lshlrev_b32_e32 v3, 6, v2
	ds_read_b128 v[8:11], v3 offset:8144
	ds_read_b128 v[12:15], v3 offset:8176
	v_lshl_or_b32 v20, v2, 2, 1
	v_min_u32_e32 v24, 0x1ff, v20
	v_add_u32_e32 v40, -16, v3
	s_waitcnt lgkmcnt(1)
	v_mul_f64 v[4:5], v[10:11], v[10:11]
	v_fmac_f64_e32 v[4:5], v[8:9], v[8:9]
	v_div_scale_f64 v[16:17], s[10:11], v[4:5], v[4:5], 1.0
	v_rcp_f64_e32 v[18:19], v[16:17]
	v_subrev_u32_e32 v25, 48, v3
	v_lshlrev_b32_e32 v41, 4, v24
	v_fma_f64 v[20:21], -v[16:17], v[18:19], 1.0
	v_fmac_f64_e32 v[18:19], v[18:19], v[20:21]
	v_fma_f64 v[20:21], -v[16:17], v[18:19], 1.0
	v_fmac_f64_e32 v[18:19], v[18:19], v[20:21]
	v_div_scale_f64 v[20:21], vcc, 1.0, v[4:5], 1.0
	v_mul_f64 v[22:23], v[20:21], v[18:19]
	v_fma_f64 v[16:17], -v[16:17], v[22:23], v[20:21]
	s_nop 1
	v_div_fmas_f64 v[20:21], v[16:17], v[18:19], v[22:23]
	ds_read_b128 v[16:19], v40
	v_div_fixup_f64 v[4:5], v[20:21], v[4:5], 1.0
	ds_read_b128 v[20:23], v25
	ds_read_b128 v[24:27], v41 offset:8192
	s_waitcnt lgkmcnt(2)
	v_mul_f64 v[28:29], v[10:11], v[18:19]
	v_mul_f64 v[10:11], v[10:11], -v[16:17]
	s_waitcnt lgkmcnt(0)
	v_mul_f64 v[34:35], v[26:27], v[26:27]
	v_fmac_f64_e32 v[34:35], v[24:25], v[24:25]
	v_div_scale_f64 v[36:37], s[10:11], v[34:35], v[34:35], 1.0
	v_rcp_f64_e32 v[38:39], v[36:37]
	v_fmac_f64_e32 v[28:29], v[16:17], v[8:9]
	v_fmac_f64_e32 v[10:11], v[18:19], v[8:9]
	v_mul_f64 v[32:33], v[4:5], v[28:29]
	v_fma_f64 v[8:9], -v[36:37], v[38:39], 1.0
	v_fmac_f64_e32 v[38:39], v[38:39], v[8:9]
	v_fma_f64 v[8:9], -v[36:37], v[38:39], 1.0
	v_fmac_f64_e32 v[38:39], v[38:39], v[8:9]
	v_div_scale_f64 v[8:9], vcc, 1.0, v[34:35], 1.0
	v_mul_f64 v[16:17], v[8:9], v[38:39]
	v_mul_f64 v[4:5], v[4:5], v[10:11]
	v_fma_f64 v[18:19], -v[36:37], v[16:17], v[8:9]
	ds_read_b128 v[8:11], v3 offset:16368
	v_div_fmas_f64 v[16:17], v[18:19], v[38:39], v[16:17]
	v_div_fixup_f64 v[34:35], v[16:17], v[34:35], 1.0
	ds_read_b128 v[16:19], v3 offset:16336
	ds_read_b128 v[28:31], v41 offset:16384
	s_waitcnt lgkmcnt(2)
	v_mul_f64 v[36:37], v[26:27], v[10:11]
	v_fmac_f64_e32 v[36:37], v[8:9], v[24:25]
	v_mul_f64 v[8:9], v[26:27], -v[8:9]
	v_fmac_f64_e32 v[8:9], v[10:11], v[24:25]
	v_mul_f64 v[24:25], v[34:35], v[8:9]
	ds_read_b128 v[8:11], v41
	s_waitcnt lgkmcnt(2)
	v_mul_f64 v[26:27], v[4:5], -v[18:19]
	v_fmac_f64_e32 v[26:27], v[16:17], v[32:33]
	v_mul_f64 v[16:17], v[4:5], v[16:17]
	v_fmac_f64_e32 v[16:17], v[18:19], v[32:33]
	v_mul_f64 v[36:37], v[34:35], v[36:37]
	v_add_f64 v[18:19], v[12:13], -v[26:27]
	v_add_f64 v[26:27], v[14:15], -v[16:17]
	ds_read_b128 v[12:15], v41 offset:32768
	s_waitcnt lgkmcnt(1)
	v_mul_f64 v[16:17], v[24:25], -v[10:11]
	v_mul_f64 v[34:35], v[24:25], v[8:9]
	v_fmac_f64_e32 v[16:17], v[8:9], v[36:37]
	v_fmac_f64_e32 v[34:35], v[10:11], v[36:37]
	ds_read_b128 v[8:11], v3 offset:32720
	v_add_f64 v[16:17], v[18:19], -v[16:17]
	v_add_f64 v[18:19], v[26:27], -v[34:35]
	ds_write_b128 v3, v[16:19] offset:8176
	ds_read_b128 v[16:19], v3 offset:32752
	s_waitcnt lgkmcnt(2)
	v_mul_f64 v[26:27], v[4:5], -v[10:11]
	v_fmac_f64_e32 v[26:27], v[8:9], v[32:33]
	v_mul_f64 v[8:9], v[4:5], v[8:9]
	v_fmac_f64_e32 v[8:9], v[10:11], v[32:33]
	s_waitcnt lgkmcnt(0)
	v_add_f64 v[10:11], v[16:17], -v[26:27]
	v_add_f64 v[16:17], v[18:19], -v[8:9]
	v_mul_f64 v[8:9], v[24:25], -v[14:15]
	v_fmac_f64_e32 v[8:9], v[12:13], v[36:37]
	v_mul_f64 v[12:13], v[24:25], v[12:13]
	v_fmac_f64_e32 v[12:13], v[14:15], v[36:37]
	v_add_f64 v[8:9], v[10:11], -v[8:9]
	v_add_f64 v[10:11], v[16:17], -v[12:13]
	ds_write_b128 v3, v[8:11] offset:32752
	v_mul_f64 v[8:9], v[4:5], v[22:23]
	v_mul_f64 v[4:5], v[4:5], -v[20:21]
	v_fma_f64 v[8:9], -v[20:21], v[32:33], v[8:9]
	v_fma_f64 v[10:11], -v[22:23], v[32:33], v[4:5]
	v_mul_f64 v[4:5], v[24:25], v[30:31]
	ds_write_b128 v40, v[8:11]
	v_fma_f64 v[8:9], -v[28:29], v[36:37], v[4:5]
	v_mul_f64 v[4:5], v[24:25], -v[28:29]
	v_fma_f64 v[10:11], -v[30:31], v[36:37], v[4:5]
	ds_write_b128 v3, v[8:11] offset:16368
.LBB81_4:
	s_or_b64 exec, exec, s[8:9]
	v_cmp_gt_u32_e64 s[20:21], 64, v0
	s_waitcnt lgkmcnt(0)
	s_barrier
	s_and_saveexec_b64 s[8:9], s[20:21]
	s_cbranch_execz .LBB81_6
; %bb.5:
	v_lshlrev_b32_e32 v3, 7, v2
	ds_read_b128 v[8:11], v3 offset:8112
	ds_read_b128 v[12:15], v3 offset:8176
	v_lshl_or_b32 v20, v2, 3, 3
	v_min_u32_e32 v24, 0x1ff, v20
	v_add_u32_e32 v40, -16, v3
	s_waitcnt lgkmcnt(1)
	v_mul_f64 v[4:5], v[10:11], v[10:11]
	v_fmac_f64_e32 v[4:5], v[8:9], v[8:9]
	v_div_scale_f64 v[16:17], s[10:11], v[4:5], v[4:5], 1.0
	v_rcp_f64_e32 v[18:19], v[16:17]
	v_add_u32_e32 v25, 0xffffffb0, v3
	v_lshlrev_b32_e32 v41, 4, v24
	v_fma_f64 v[20:21], -v[16:17], v[18:19], 1.0
	v_fmac_f64_e32 v[18:19], v[18:19], v[20:21]
	v_fma_f64 v[20:21], -v[16:17], v[18:19], 1.0
	v_fmac_f64_e32 v[18:19], v[18:19], v[20:21]
	v_div_scale_f64 v[20:21], vcc, 1.0, v[4:5], 1.0
	v_mul_f64 v[22:23], v[20:21], v[18:19]
	v_fma_f64 v[16:17], -v[16:17], v[22:23], v[20:21]
	s_nop 1
	v_div_fmas_f64 v[20:21], v[16:17], v[18:19], v[22:23]
	ds_read_b128 v[16:19], v40
	v_div_fixup_f64 v[4:5], v[20:21], v[4:5], 1.0
	ds_read_b128 v[20:23], v25
	ds_read_b128 v[24:27], v41 offset:8192
	s_waitcnt lgkmcnt(2)
	v_mul_f64 v[28:29], v[10:11], v[18:19]
	v_mul_f64 v[10:11], v[10:11], -v[16:17]
	s_waitcnt lgkmcnt(0)
	v_mul_f64 v[34:35], v[26:27], v[26:27]
	v_fmac_f64_e32 v[34:35], v[24:25], v[24:25]
	v_div_scale_f64 v[36:37], s[10:11], v[34:35], v[34:35], 1.0
	v_rcp_f64_e32 v[38:39], v[36:37]
	v_fmac_f64_e32 v[28:29], v[16:17], v[8:9]
	v_fmac_f64_e32 v[10:11], v[18:19], v[8:9]
	v_mul_f64 v[32:33], v[4:5], v[28:29]
	v_fma_f64 v[8:9], -v[36:37], v[38:39], 1.0
	v_fmac_f64_e32 v[38:39], v[38:39], v[8:9]
	v_fma_f64 v[8:9], -v[36:37], v[38:39], 1.0
	v_fmac_f64_e32 v[38:39], v[38:39], v[8:9]
	v_div_scale_f64 v[8:9], vcc, 1.0, v[34:35], 1.0
	v_mul_f64 v[16:17], v[8:9], v[38:39]
	v_mul_f64 v[4:5], v[4:5], v[10:11]
	v_fma_f64 v[18:19], -v[36:37], v[16:17], v[8:9]
	ds_read_b128 v[8:11], v3 offset:16368
	v_div_fmas_f64 v[16:17], v[18:19], v[38:39], v[16:17]
	v_div_fixup_f64 v[34:35], v[16:17], v[34:35], 1.0
	ds_read_b128 v[16:19], v3 offset:16304
	ds_read_b128 v[28:31], v41 offset:16384
	s_waitcnt lgkmcnt(2)
	v_mul_f64 v[36:37], v[26:27], v[10:11]
	v_fmac_f64_e32 v[36:37], v[8:9], v[24:25]
	v_mul_f64 v[8:9], v[26:27], -v[8:9]
	v_fmac_f64_e32 v[8:9], v[10:11], v[24:25]
	v_mul_f64 v[24:25], v[34:35], v[8:9]
	ds_read_b128 v[8:11], v41
	s_waitcnt lgkmcnt(2)
	v_mul_f64 v[26:27], v[4:5], -v[18:19]
	v_fmac_f64_e32 v[26:27], v[16:17], v[32:33]
	v_mul_f64 v[16:17], v[4:5], v[16:17]
	v_fmac_f64_e32 v[16:17], v[18:19], v[32:33]
	v_mul_f64 v[36:37], v[34:35], v[36:37]
	v_add_f64 v[18:19], v[12:13], -v[26:27]
	v_add_f64 v[26:27], v[14:15], -v[16:17]
	ds_read_b128 v[12:15], v41 offset:32768
	s_waitcnt lgkmcnt(1)
	v_mul_f64 v[16:17], v[24:25], -v[10:11]
	v_mul_f64 v[34:35], v[24:25], v[8:9]
	v_fmac_f64_e32 v[16:17], v[8:9], v[36:37]
	v_fmac_f64_e32 v[34:35], v[10:11], v[36:37]
	ds_read_b128 v[8:11], v3 offset:32688
	v_add_f64 v[16:17], v[18:19], -v[16:17]
	v_add_f64 v[18:19], v[26:27], -v[34:35]
	ds_write_b128 v3, v[16:19] offset:8176
	ds_read_b128 v[16:19], v3 offset:32752
	s_waitcnt lgkmcnt(2)
	v_mul_f64 v[26:27], v[4:5], -v[10:11]
	v_fmac_f64_e32 v[26:27], v[8:9], v[32:33]
	v_mul_f64 v[8:9], v[4:5], v[8:9]
	v_fmac_f64_e32 v[8:9], v[10:11], v[32:33]
	s_waitcnt lgkmcnt(0)
	v_add_f64 v[10:11], v[16:17], -v[26:27]
	v_add_f64 v[16:17], v[18:19], -v[8:9]
	v_mul_f64 v[8:9], v[24:25], -v[14:15]
	v_fmac_f64_e32 v[8:9], v[12:13], v[36:37]
	v_mul_f64 v[12:13], v[24:25], v[12:13]
	v_fmac_f64_e32 v[12:13], v[14:15], v[36:37]
	v_add_f64 v[8:9], v[10:11], -v[8:9]
	v_add_f64 v[10:11], v[16:17], -v[12:13]
	ds_write_b128 v3, v[8:11] offset:32752
	v_mul_f64 v[8:9], v[4:5], v[22:23]
	v_mul_f64 v[4:5], v[4:5], -v[20:21]
	v_fma_f64 v[8:9], -v[20:21], v[32:33], v[8:9]
	v_fma_f64 v[10:11], -v[22:23], v[32:33], v[4:5]
	v_mul_f64 v[4:5], v[24:25], v[30:31]
	ds_write_b128 v40, v[8:11]
	v_fma_f64 v[8:9], -v[28:29], v[36:37], v[4:5]
	v_mul_f64 v[4:5], v[24:25], -v[28:29]
	v_fma_f64 v[10:11], -v[30:31], v[36:37], v[4:5]
	ds_write_b128 v3, v[8:11] offset:16368
.LBB81_6:
	s_or_b64 exec, exec, s[8:9]
	v_cmp_gt_u32_e64 s[8:9], 32, v0
	s_waitcnt lgkmcnt(0)
	s_barrier
	s_and_saveexec_b64 s[10:11], s[8:9]
	s_cbranch_execz .LBB81_8
; %bb.7:
	v_lshlrev_b32_e32 v3, 8, v2
	ds_read_b128 v[8:11], v3 offset:8048
	ds_read_b128 v[12:15], v3 offset:8176
	v_lshl_or_b32 v20, v2, 4, 7
	v_min_u32_e32 v24, 0x1ff, v20
	v_add_u32_e32 v40, -16, v3
	s_waitcnt lgkmcnt(1)
	v_mul_f64 v[4:5], v[10:11], v[10:11]
	v_fmac_f64_e32 v[4:5], v[8:9], v[8:9]
	v_div_scale_f64 v[16:17], s[12:13], v[4:5], v[4:5], 1.0
	v_rcp_f64_e32 v[18:19], v[16:17]
	v_add_u32_e32 v25, 0xffffff70, v3
	v_lshlrev_b32_e32 v41, 4, v24
	v_fma_f64 v[20:21], -v[16:17], v[18:19], 1.0
	v_fmac_f64_e32 v[18:19], v[18:19], v[20:21]
	v_fma_f64 v[20:21], -v[16:17], v[18:19], 1.0
	v_fmac_f64_e32 v[18:19], v[18:19], v[20:21]
	v_div_scale_f64 v[20:21], vcc, 1.0, v[4:5], 1.0
	v_mul_f64 v[22:23], v[20:21], v[18:19]
	v_fma_f64 v[16:17], -v[16:17], v[22:23], v[20:21]
	s_nop 1
	v_div_fmas_f64 v[20:21], v[16:17], v[18:19], v[22:23]
	ds_read_b128 v[16:19], v40
	v_div_fixup_f64 v[4:5], v[20:21], v[4:5], 1.0
	ds_read_b128 v[20:23], v25
	ds_read_b128 v[24:27], v41 offset:8192
	s_waitcnt lgkmcnt(2)
	v_mul_f64 v[28:29], v[10:11], v[18:19]
	v_mul_f64 v[10:11], v[10:11], -v[16:17]
	s_waitcnt lgkmcnt(0)
	v_mul_f64 v[34:35], v[26:27], v[26:27]
	v_fmac_f64_e32 v[34:35], v[24:25], v[24:25]
	v_div_scale_f64 v[36:37], s[12:13], v[34:35], v[34:35], 1.0
	v_rcp_f64_e32 v[38:39], v[36:37]
	v_fmac_f64_e32 v[28:29], v[16:17], v[8:9]
	v_fmac_f64_e32 v[10:11], v[18:19], v[8:9]
	v_mul_f64 v[32:33], v[4:5], v[28:29]
	v_fma_f64 v[8:9], -v[36:37], v[38:39], 1.0
	v_fmac_f64_e32 v[38:39], v[38:39], v[8:9]
	v_fma_f64 v[8:9], -v[36:37], v[38:39], 1.0
	v_fmac_f64_e32 v[38:39], v[38:39], v[8:9]
	v_div_scale_f64 v[8:9], vcc, 1.0, v[34:35], 1.0
	v_mul_f64 v[16:17], v[8:9], v[38:39]
	v_mul_f64 v[4:5], v[4:5], v[10:11]
	v_fma_f64 v[18:19], -v[36:37], v[16:17], v[8:9]
	ds_read_b128 v[8:11], v3 offset:16368
	v_div_fmas_f64 v[16:17], v[18:19], v[38:39], v[16:17]
	v_div_fixup_f64 v[34:35], v[16:17], v[34:35], 1.0
	ds_read_b128 v[16:19], v3 offset:16240
	ds_read_b128 v[28:31], v41 offset:16384
	s_waitcnt lgkmcnt(2)
	v_mul_f64 v[36:37], v[26:27], v[10:11]
	v_fmac_f64_e32 v[36:37], v[8:9], v[24:25]
	v_mul_f64 v[8:9], v[26:27], -v[8:9]
	v_fmac_f64_e32 v[8:9], v[10:11], v[24:25]
	v_mul_f64 v[24:25], v[34:35], v[8:9]
	ds_read_b128 v[8:11], v41
	s_waitcnt lgkmcnt(2)
	v_mul_f64 v[26:27], v[4:5], -v[18:19]
	v_fmac_f64_e32 v[26:27], v[16:17], v[32:33]
	v_mul_f64 v[16:17], v[4:5], v[16:17]
	v_fmac_f64_e32 v[16:17], v[18:19], v[32:33]
	v_mul_f64 v[36:37], v[34:35], v[36:37]
	v_add_f64 v[18:19], v[12:13], -v[26:27]
	v_add_f64 v[26:27], v[14:15], -v[16:17]
	ds_read_b128 v[12:15], v41 offset:32768
	s_waitcnt lgkmcnt(1)
	v_mul_f64 v[16:17], v[24:25], -v[10:11]
	v_mul_f64 v[34:35], v[24:25], v[8:9]
	v_fmac_f64_e32 v[16:17], v[8:9], v[36:37]
	v_fmac_f64_e32 v[34:35], v[10:11], v[36:37]
	ds_read_b128 v[8:11], v3 offset:32624
	v_add_f64 v[16:17], v[18:19], -v[16:17]
	v_add_f64 v[18:19], v[26:27], -v[34:35]
	ds_write_b128 v3, v[16:19] offset:8176
	ds_read_b128 v[16:19], v3 offset:32752
	s_waitcnt lgkmcnt(2)
	v_mul_f64 v[26:27], v[4:5], -v[10:11]
	v_fmac_f64_e32 v[26:27], v[8:9], v[32:33]
	v_mul_f64 v[8:9], v[4:5], v[8:9]
	v_fmac_f64_e32 v[8:9], v[10:11], v[32:33]
	s_waitcnt lgkmcnt(0)
	v_add_f64 v[10:11], v[16:17], -v[26:27]
	v_add_f64 v[16:17], v[18:19], -v[8:9]
	v_mul_f64 v[8:9], v[24:25], -v[14:15]
	v_fmac_f64_e32 v[8:9], v[12:13], v[36:37]
	v_mul_f64 v[12:13], v[24:25], v[12:13]
	v_fmac_f64_e32 v[12:13], v[14:15], v[36:37]
	v_add_f64 v[8:9], v[10:11], -v[8:9]
	v_add_f64 v[10:11], v[16:17], -v[12:13]
	ds_write_b128 v3, v[8:11] offset:32752
	v_mul_f64 v[8:9], v[4:5], v[22:23]
	v_mul_f64 v[4:5], v[4:5], -v[20:21]
	v_fma_f64 v[8:9], -v[20:21], v[32:33], v[8:9]
	v_fma_f64 v[10:11], -v[22:23], v[32:33], v[4:5]
	v_mul_f64 v[4:5], v[24:25], v[30:31]
	ds_write_b128 v40, v[8:11]
	v_fma_f64 v[8:9], -v[28:29], v[36:37], v[4:5]
	v_mul_f64 v[4:5], v[24:25], -v[28:29]
	v_fma_f64 v[10:11], -v[30:31], v[36:37], v[4:5]
	ds_write_b128 v3, v[8:11] offset:16368
.LBB81_8:
	s_or_b64 exec, exec, s[10:11]
	v_cmp_gt_u32_e64 s[10:11], 16, v0
	s_waitcnt lgkmcnt(0)
	s_barrier
	s_and_saveexec_b64 s[12:13], s[10:11]
	s_cbranch_execz .LBB81_10
; %bb.9:
	v_lshlrev_b32_e32 v3, 9, v2
	ds_read_b128 v[8:11], v3 offset:7920
	ds_read_b128 v[12:15], v3 offset:8176
	v_lshl_or_b32 v20, v2, 5, 15
	v_min_u32_e32 v24, 0x1ff, v20
	v_add_u32_e32 v40, -16, v3
	s_waitcnt lgkmcnt(1)
	v_mul_f64 v[4:5], v[10:11], v[10:11]
	v_fmac_f64_e32 v[4:5], v[8:9], v[8:9]
	v_div_scale_f64 v[16:17], s[14:15], v[4:5], v[4:5], 1.0
	v_rcp_f64_e32 v[18:19], v[16:17]
	v_add_u32_e32 v25, 0xfffffef0, v3
	v_lshlrev_b32_e32 v41, 4, v24
	v_fma_f64 v[20:21], -v[16:17], v[18:19], 1.0
	v_fmac_f64_e32 v[18:19], v[18:19], v[20:21]
	v_fma_f64 v[20:21], -v[16:17], v[18:19], 1.0
	v_fmac_f64_e32 v[18:19], v[18:19], v[20:21]
	v_div_scale_f64 v[20:21], vcc, 1.0, v[4:5], 1.0
	v_mul_f64 v[22:23], v[20:21], v[18:19]
	v_fma_f64 v[16:17], -v[16:17], v[22:23], v[20:21]
	s_nop 1
	v_div_fmas_f64 v[20:21], v[16:17], v[18:19], v[22:23]
	ds_read_b128 v[16:19], v40
	v_div_fixup_f64 v[4:5], v[20:21], v[4:5], 1.0
	ds_read_b128 v[20:23], v25
	ds_read_b128 v[24:27], v41 offset:8192
	s_waitcnt lgkmcnt(2)
	v_mul_f64 v[28:29], v[10:11], v[18:19]
	v_mul_f64 v[10:11], v[10:11], -v[16:17]
	s_waitcnt lgkmcnt(0)
	v_mul_f64 v[34:35], v[26:27], v[26:27]
	v_fmac_f64_e32 v[34:35], v[24:25], v[24:25]
	v_div_scale_f64 v[36:37], s[14:15], v[34:35], v[34:35], 1.0
	v_rcp_f64_e32 v[38:39], v[36:37]
	v_fmac_f64_e32 v[28:29], v[16:17], v[8:9]
	v_fmac_f64_e32 v[10:11], v[18:19], v[8:9]
	v_mul_f64 v[32:33], v[4:5], v[28:29]
	v_fma_f64 v[8:9], -v[36:37], v[38:39], 1.0
	v_fmac_f64_e32 v[38:39], v[38:39], v[8:9]
	v_fma_f64 v[8:9], -v[36:37], v[38:39], 1.0
	v_fmac_f64_e32 v[38:39], v[38:39], v[8:9]
	v_div_scale_f64 v[8:9], vcc, 1.0, v[34:35], 1.0
	v_mul_f64 v[16:17], v[8:9], v[38:39]
	v_mul_f64 v[4:5], v[4:5], v[10:11]
	v_fma_f64 v[18:19], -v[36:37], v[16:17], v[8:9]
	ds_read_b128 v[8:11], v3 offset:16368
	v_div_fmas_f64 v[16:17], v[18:19], v[38:39], v[16:17]
	v_div_fixup_f64 v[34:35], v[16:17], v[34:35], 1.0
	ds_read_b128 v[16:19], v3 offset:16112
	ds_read_b128 v[28:31], v41 offset:16384
	s_waitcnt lgkmcnt(2)
	v_mul_f64 v[36:37], v[26:27], v[10:11]
	v_fmac_f64_e32 v[36:37], v[8:9], v[24:25]
	v_mul_f64 v[8:9], v[26:27], -v[8:9]
	v_fmac_f64_e32 v[8:9], v[10:11], v[24:25]
	v_mul_f64 v[24:25], v[34:35], v[8:9]
	ds_read_b128 v[8:11], v41
	s_waitcnt lgkmcnt(2)
	v_mul_f64 v[26:27], v[4:5], -v[18:19]
	v_fmac_f64_e32 v[26:27], v[16:17], v[32:33]
	v_mul_f64 v[16:17], v[4:5], v[16:17]
	v_fmac_f64_e32 v[16:17], v[18:19], v[32:33]
	v_mul_f64 v[36:37], v[34:35], v[36:37]
	v_add_f64 v[18:19], v[12:13], -v[26:27]
	v_add_f64 v[26:27], v[14:15], -v[16:17]
	ds_read_b128 v[12:15], v41 offset:32768
	s_waitcnt lgkmcnt(1)
	v_mul_f64 v[16:17], v[24:25], -v[10:11]
	v_mul_f64 v[34:35], v[24:25], v[8:9]
	v_fmac_f64_e32 v[16:17], v[8:9], v[36:37]
	v_fmac_f64_e32 v[34:35], v[10:11], v[36:37]
	ds_read_b128 v[8:11], v3 offset:32496
	v_add_f64 v[16:17], v[18:19], -v[16:17]
	v_add_f64 v[18:19], v[26:27], -v[34:35]
	ds_write_b128 v3, v[16:19] offset:8176
	ds_read_b128 v[16:19], v3 offset:32752
	s_waitcnt lgkmcnt(2)
	v_mul_f64 v[26:27], v[4:5], -v[10:11]
	v_fmac_f64_e32 v[26:27], v[8:9], v[32:33]
	v_mul_f64 v[8:9], v[4:5], v[8:9]
	v_fmac_f64_e32 v[8:9], v[10:11], v[32:33]
	s_waitcnt lgkmcnt(0)
	v_add_f64 v[10:11], v[16:17], -v[26:27]
	v_add_f64 v[16:17], v[18:19], -v[8:9]
	v_mul_f64 v[8:9], v[24:25], -v[14:15]
	v_fmac_f64_e32 v[8:9], v[12:13], v[36:37]
	v_mul_f64 v[12:13], v[24:25], v[12:13]
	v_fmac_f64_e32 v[12:13], v[14:15], v[36:37]
	v_add_f64 v[8:9], v[10:11], -v[8:9]
	v_add_f64 v[10:11], v[16:17], -v[12:13]
	ds_write_b128 v3, v[8:11] offset:32752
	v_mul_f64 v[8:9], v[4:5], v[22:23]
	v_mul_f64 v[4:5], v[4:5], -v[20:21]
	v_fma_f64 v[8:9], -v[20:21], v[32:33], v[8:9]
	v_fma_f64 v[10:11], -v[22:23], v[32:33], v[4:5]
	v_mul_f64 v[4:5], v[24:25], v[30:31]
	ds_write_b128 v40, v[8:11]
	v_fma_f64 v[8:9], -v[28:29], v[36:37], v[4:5]
	v_mul_f64 v[4:5], v[24:25], -v[28:29]
	v_fma_f64 v[10:11], -v[30:31], v[36:37], v[4:5]
	ds_write_b128 v3, v[8:11] offset:16368
.LBB81_10:
	s_or_b64 exec, exec, s[12:13]
	v_cmp_gt_u32_e64 s[14:15], 8, v0
	s_waitcnt lgkmcnt(0)
	s_barrier
	s_and_saveexec_b64 s[12:13], s[14:15]
	s_cbranch_execz .LBB81_12
; %bb.11:
	v_lshlrev_b32_e32 v3, 10, v2
	ds_read_b128 v[8:11], v3 offset:7664
	ds_read_b128 v[12:15], v3 offset:8176
	v_lshl_or_b32 v20, v2, 6, 31
	v_min_u32_e32 v24, 0x1ff, v20
	v_add_u32_e32 v40, -16, v3
	s_waitcnt lgkmcnt(1)
	v_mul_f64 v[4:5], v[10:11], v[10:11]
	v_fmac_f64_e32 v[4:5], v[8:9], v[8:9]
	v_div_scale_f64 v[16:17], s[16:17], v[4:5], v[4:5], 1.0
	v_rcp_f64_e32 v[18:19], v[16:17]
	v_add_u32_e32 v25, 0xfffffdf0, v3
	v_lshlrev_b32_e32 v41, 4, v24
	v_fma_f64 v[20:21], -v[16:17], v[18:19], 1.0
	v_fmac_f64_e32 v[18:19], v[18:19], v[20:21]
	v_fma_f64 v[20:21], -v[16:17], v[18:19], 1.0
	v_fmac_f64_e32 v[18:19], v[18:19], v[20:21]
	v_div_scale_f64 v[20:21], vcc, 1.0, v[4:5], 1.0
	v_mul_f64 v[22:23], v[20:21], v[18:19]
	v_fma_f64 v[16:17], -v[16:17], v[22:23], v[20:21]
	s_nop 1
	v_div_fmas_f64 v[20:21], v[16:17], v[18:19], v[22:23]
	ds_read_b128 v[16:19], v40
	v_div_fixup_f64 v[4:5], v[20:21], v[4:5], 1.0
	ds_read_b128 v[20:23], v25
	ds_read_b128 v[24:27], v41 offset:8192
	s_waitcnt lgkmcnt(2)
	v_mul_f64 v[28:29], v[10:11], v[18:19]
	v_mul_f64 v[10:11], v[10:11], -v[16:17]
	s_waitcnt lgkmcnt(0)
	v_mul_f64 v[34:35], v[26:27], v[26:27]
	v_fmac_f64_e32 v[34:35], v[24:25], v[24:25]
	v_div_scale_f64 v[36:37], s[16:17], v[34:35], v[34:35], 1.0
	v_rcp_f64_e32 v[38:39], v[36:37]
	v_fmac_f64_e32 v[28:29], v[16:17], v[8:9]
	v_fmac_f64_e32 v[10:11], v[18:19], v[8:9]
	v_mul_f64 v[32:33], v[4:5], v[28:29]
	v_fma_f64 v[8:9], -v[36:37], v[38:39], 1.0
	v_fmac_f64_e32 v[38:39], v[38:39], v[8:9]
	v_fma_f64 v[8:9], -v[36:37], v[38:39], 1.0
	v_fmac_f64_e32 v[38:39], v[38:39], v[8:9]
	v_div_scale_f64 v[8:9], vcc, 1.0, v[34:35], 1.0
	v_mul_f64 v[16:17], v[8:9], v[38:39]
	v_mul_f64 v[4:5], v[4:5], v[10:11]
	v_fma_f64 v[18:19], -v[36:37], v[16:17], v[8:9]
	ds_read_b128 v[8:11], v3 offset:16368
	v_div_fmas_f64 v[16:17], v[18:19], v[38:39], v[16:17]
	v_div_fixup_f64 v[34:35], v[16:17], v[34:35], 1.0
	ds_read_b128 v[16:19], v3 offset:15856
	ds_read_b128 v[28:31], v41 offset:16384
	s_waitcnt lgkmcnt(2)
	v_mul_f64 v[36:37], v[26:27], v[10:11]
	v_fmac_f64_e32 v[36:37], v[8:9], v[24:25]
	v_mul_f64 v[8:9], v[26:27], -v[8:9]
	v_fmac_f64_e32 v[8:9], v[10:11], v[24:25]
	v_mul_f64 v[24:25], v[34:35], v[8:9]
	ds_read_b128 v[8:11], v41
	s_waitcnt lgkmcnt(2)
	v_mul_f64 v[26:27], v[4:5], -v[18:19]
	v_fmac_f64_e32 v[26:27], v[16:17], v[32:33]
	v_mul_f64 v[16:17], v[4:5], v[16:17]
	v_fmac_f64_e32 v[16:17], v[18:19], v[32:33]
	v_mul_f64 v[36:37], v[34:35], v[36:37]
	v_add_f64 v[18:19], v[12:13], -v[26:27]
	v_add_f64 v[26:27], v[14:15], -v[16:17]
	ds_read_b128 v[12:15], v41 offset:32768
	s_waitcnt lgkmcnt(1)
	v_mul_f64 v[16:17], v[24:25], -v[10:11]
	v_mul_f64 v[34:35], v[24:25], v[8:9]
	v_fmac_f64_e32 v[16:17], v[8:9], v[36:37]
	v_fmac_f64_e32 v[34:35], v[10:11], v[36:37]
	ds_read_b128 v[8:11], v3 offset:32240
	v_add_f64 v[16:17], v[18:19], -v[16:17]
	v_add_f64 v[18:19], v[26:27], -v[34:35]
	ds_write_b128 v3, v[16:19] offset:8176
	ds_read_b128 v[16:19], v3 offset:32752
	s_waitcnt lgkmcnt(2)
	v_mul_f64 v[26:27], v[4:5], -v[10:11]
	v_fmac_f64_e32 v[26:27], v[8:9], v[32:33]
	v_mul_f64 v[8:9], v[4:5], v[8:9]
	v_fmac_f64_e32 v[8:9], v[10:11], v[32:33]
	s_waitcnt lgkmcnt(0)
	v_add_f64 v[10:11], v[16:17], -v[26:27]
	v_add_f64 v[16:17], v[18:19], -v[8:9]
	v_mul_f64 v[8:9], v[24:25], -v[14:15]
	v_fmac_f64_e32 v[8:9], v[12:13], v[36:37]
	v_mul_f64 v[12:13], v[24:25], v[12:13]
	v_fmac_f64_e32 v[12:13], v[14:15], v[36:37]
	v_add_f64 v[8:9], v[10:11], -v[8:9]
	v_add_f64 v[10:11], v[16:17], -v[12:13]
	ds_write_b128 v3, v[8:11] offset:32752
	v_mul_f64 v[8:9], v[4:5], v[22:23]
	v_mul_f64 v[4:5], v[4:5], -v[20:21]
	v_fma_f64 v[8:9], -v[20:21], v[32:33], v[8:9]
	v_fma_f64 v[10:11], -v[22:23], v[32:33], v[4:5]
	v_mul_f64 v[4:5], v[24:25], v[30:31]
	ds_write_b128 v40, v[8:11]
	v_fma_f64 v[8:9], -v[28:29], v[36:37], v[4:5]
	v_mul_f64 v[4:5], v[24:25], -v[28:29]
	v_fma_f64 v[10:11], -v[30:31], v[36:37], v[4:5]
	ds_write_b128 v3, v[8:11] offset:16368
.LBB81_12:
	s_or_b64 exec, exec, s[12:13]
	v_cmp_gt_u32_e64 s[16:17], 4, v0
	s_waitcnt lgkmcnt(0)
	s_barrier
	s_and_saveexec_b64 s[12:13], s[16:17]
	s_cbranch_execz .LBB81_14
; %bb.13:
	v_lshlrev_b32_e32 v3, 11, v2
	ds_read_b128 v[8:11], v3 offset:7152
	ds_read_b128 v[12:15], v3 offset:8176
	v_lshl_or_b32 v20, v2, 7, 63
	v_min_u32_e32 v24, 0x1ff, v20
	v_add_u32_e32 v40, -16, v3
	s_waitcnt lgkmcnt(1)
	v_mul_f64 v[4:5], v[10:11], v[10:11]
	v_fmac_f64_e32 v[4:5], v[8:9], v[8:9]
	v_div_scale_f64 v[16:17], s[18:19], v[4:5], v[4:5], 1.0
	v_rcp_f64_e32 v[18:19], v[16:17]
	v_add_u32_e32 v25, 0xfffffbf0, v3
	v_lshlrev_b32_e32 v41, 4, v24
	v_fma_f64 v[20:21], -v[16:17], v[18:19], 1.0
	v_fmac_f64_e32 v[18:19], v[18:19], v[20:21]
	v_fma_f64 v[20:21], -v[16:17], v[18:19], 1.0
	v_fmac_f64_e32 v[18:19], v[18:19], v[20:21]
	v_div_scale_f64 v[20:21], vcc, 1.0, v[4:5], 1.0
	v_mul_f64 v[22:23], v[20:21], v[18:19]
	v_fma_f64 v[16:17], -v[16:17], v[22:23], v[20:21]
	s_nop 1
	v_div_fmas_f64 v[20:21], v[16:17], v[18:19], v[22:23]
	ds_read_b128 v[16:19], v40
	v_div_fixup_f64 v[4:5], v[20:21], v[4:5], 1.0
	ds_read_b128 v[20:23], v25
	ds_read_b128 v[24:27], v41 offset:8192
	s_waitcnt lgkmcnt(2)
	v_mul_f64 v[28:29], v[10:11], v[18:19]
	v_mul_f64 v[10:11], v[10:11], -v[16:17]
	s_waitcnt lgkmcnt(0)
	v_mul_f64 v[34:35], v[26:27], v[26:27]
	v_fmac_f64_e32 v[34:35], v[24:25], v[24:25]
	v_div_scale_f64 v[36:37], s[18:19], v[34:35], v[34:35], 1.0
	v_rcp_f64_e32 v[38:39], v[36:37]
	v_fmac_f64_e32 v[28:29], v[16:17], v[8:9]
	v_fmac_f64_e32 v[10:11], v[18:19], v[8:9]
	v_mul_f64 v[32:33], v[4:5], v[28:29]
	v_fma_f64 v[8:9], -v[36:37], v[38:39], 1.0
	v_fmac_f64_e32 v[38:39], v[38:39], v[8:9]
	v_fma_f64 v[8:9], -v[36:37], v[38:39], 1.0
	v_fmac_f64_e32 v[38:39], v[38:39], v[8:9]
	v_div_scale_f64 v[8:9], vcc, 1.0, v[34:35], 1.0
	v_mul_f64 v[16:17], v[8:9], v[38:39]
	v_mul_f64 v[4:5], v[4:5], v[10:11]
	v_fma_f64 v[18:19], -v[36:37], v[16:17], v[8:9]
	ds_read_b128 v[8:11], v3 offset:16368
	v_div_fmas_f64 v[16:17], v[18:19], v[38:39], v[16:17]
	v_div_fixup_f64 v[34:35], v[16:17], v[34:35], 1.0
	ds_read_b128 v[16:19], v3 offset:15344
	ds_read_b128 v[28:31], v41 offset:16384
	s_waitcnt lgkmcnt(2)
	v_mul_f64 v[36:37], v[26:27], v[10:11]
	v_fmac_f64_e32 v[36:37], v[8:9], v[24:25]
	v_mul_f64 v[8:9], v[26:27], -v[8:9]
	v_fmac_f64_e32 v[8:9], v[10:11], v[24:25]
	v_mul_f64 v[24:25], v[34:35], v[8:9]
	ds_read_b128 v[8:11], v41
	s_waitcnt lgkmcnt(2)
	v_mul_f64 v[26:27], v[4:5], -v[18:19]
	v_fmac_f64_e32 v[26:27], v[16:17], v[32:33]
	v_mul_f64 v[16:17], v[4:5], v[16:17]
	v_fmac_f64_e32 v[16:17], v[18:19], v[32:33]
	v_mul_f64 v[36:37], v[34:35], v[36:37]
	v_add_f64 v[18:19], v[12:13], -v[26:27]
	v_add_f64 v[26:27], v[14:15], -v[16:17]
	ds_read_b128 v[12:15], v41 offset:32768
	s_waitcnt lgkmcnt(1)
	v_mul_f64 v[16:17], v[24:25], -v[10:11]
	v_mul_f64 v[34:35], v[24:25], v[8:9]
	v_fmac_f64_e32 v[16:17], v[8:9], v[36:37]
	v_fmac_f64_e32 v[34:35], v[10:11], v[36:37]
	ds_read_b128 v[8:11], v3 offset:31728
	v_add_f64 v[16:17], v[18:19], -v[16:17]
	v_add_f64 v[18:19], v[26:27], -v[34:35]
	ds_write_b128 v3, v[16:19] offset:8176
	ds_read_b128 v[16:19], v3 offset:32752
	s_waitcnt lgkmcnt(2)
	v_mul_f64 v[26:27], v[4:5], -v[10:11]
	v_fmac_f64_e32 v[26:27], v[8:9], v[32:33]
	v_mul_f64 v[8:9], v[4:5], v[8:9]
	v_fmac_f64_e32 v[8:9], v[10:11], v[32:33]
	s_waitcnt lgkmcnt(0)
	v_add_f64 v[10:11], v[16:17], -v[26:27]
	v_add_f64 v[16:17], v[18:19], -v[8:9]
	v_mul_f64 v[8:9], v[24:25], -v[14:15]
	v_fmac_f64_e32 v[8:9], v[12:13], v[36:37]
	v_mul_f64 v[12:13], v[24:25], v[12:13]
	v_fmac_f64_e32 v[12:13], v[14:15], v[36:37]
	v_add_f64 v[8:9], v[10:11], -v[8:9]
	v_add_f64 v[10:11], v[16:17], -v[12:13]
	ds_write_b128 v3, v[8:11] offset:32752
	v_mul_f64 v[8:9], v[4:5], v[22:23]
	v_mul_f64 v[4:5], v[4:5], -v[20:21]
	v_fma_f64 v[8:9], -v[20:21], v[32:33], v[8:9]
	v_fma_f64 v[10:11], -v[22:23], v[32:33], v[4:5]
	v_mul_f64 v[4:5], v[24:25], v[30:31]
	ds_write_b128 v40, v[8:11]
	v_fma_f64 v[8:9], -v[28:29], v[36:37], v[4:5]
	v_mul_f64 v[4:5], v[24:25], -v[28:29]
	v_fma_f64 v[10:11], -v[30:31], v[36:37], v[4:5]
	ds_write_b128 v3, v[8:11] offset:16368
.LBB81_14:
	s_or_b64 exec, exec, s[12:13]
	v_cmp_gt_u32_e64 s[18:19], 2, v0
	s_waitcnt lgkmcnt(0)
	s_barrier
	s_and_saveexec_b64 s[12:13], s[18:19]
	s_cbranch_execz .LBB81_16
; %bb.15:
	v_lshlrev_b32_e32 v38, 12, v2
	ds_read_b128 v[8:11], v38 offset:6128
	v_mov_b32_e32 v3, 0x7f
	v_lshl_or_b32 v18, v2, 8, v3
	ds_read_b128 v[2:5], v38 offset:8176
	v_min_u32_e32 v23, 0x1ff, v18
	s_waitcnt lgkmcnt(1)
	v_mul_f64 v[16:17], v[10:11], v[10:11]
	v_fmac_f64_e32 v[16:17], v[8:9], v[8:9]
	v_div_scale_f64 v[12:13], s[22:23], v[16:17], v[16:17], 1.0
	v_rcp_f64_e32 v[14:15], v[12:13]
	v_add_u32_e32 v39, -16, v38
	v_add_u32_e32 v22, 0xfffff7f0, v38
	v_lshlrev_b32_e32 v40, 4, v23
	v_fma_f64 v[18:19], -v[12:13], v[14:15], 1.0
	v_fmac_f64_e32 v[14:15], v[14:15], v[18:19]
	v_fma_f64 v[18:19], -v[12:13], v[14:15], 1.0
	v_fmac_f64_e32 v[14:15], v[14:15], v[18:19]
	v_div_scale_f64 v[18:19], vcc, 1.0, v[16:17], 1.0
	v_mul_f64 v[20:21], v[18:19], v[14:15]
	v_fma_f64 v[12:13], -v[12:13], v[20:21], v[18:19]
	s_nop 1
	v_div_fmas_f64 v[18:19], v[12:13], v[14:15], v[20:21]
	ds_read_b128 v[12:15], v39
	v_div_fixup_f64 v[28:29], v[18:19], v[16:17], 1.0
	ds_read_b128 v[16:19], v22
	ds_read_b128 v[20:23], v40 offset:8192
	s_waitcnt lgkmcnt(2)
	v_mul_f64 v[24:25], v[10:11], v[14:15]
	v_mul_f64 v[10:11], v[10:11], -v[12:13]
	s_waitcnt lgkmcnt(0)
	v_mul_f64 v[32:33], v[22:23], v[22:23]
	v_fmac_f64_e32 v[32:33], v[20:21], v[20:21]
	v_div_scale_f64 v[34:35], s[22:23], v[32:33], v[32:33], 1.0
	v_rcp_f64_e32 v[36:37], v[34:35]
	v_fmac_f64_e32 v[24:25], v[12:13], v[8:9]
	v_fmac_f64_e32 v[10:11], v[14:15], v[8:9]
	v_mul_f64 v[30:31], v[28:29], v[24:25]
	v_fma_f64 v[8:9], -v[34:35], v[36:37], 1.0
	v_fmac_f64_e32 v[36:37], v[36:37], v[8:9]
	v_fma_f64 v[8:9], -v[34:35], v[36:37], 1.0
	v_fmac_f64_e32 v[36:37], v[36:37], v[8:9]
	v_div_scale_f64 v[8:9], vcc, 1.0, v[32:33], 1.0
	v_mul_f64 v[12:13], v[8:9], v[36:37]
	v_mul_f64 v[28:29], v[28:29], v[10:11]
	v_fma_f64 v[14:15], -v[34:35], v[12:13], v[8:9]
	ds_read_b128 v[8:11], v38 offset:16368
	v_div_fmas_f64 v[12:13], v[14:15], v[36:37], v[12:13]
	v_div_fixup_f64 v[32:33], v[12:13], v[32:33], 1.0
	ds_read_b128 v[12:15], v38 offset:14320
	ds_read_b128 v[24:27], v40 offset:16384
	s_waitcnt lgkmcnt(2)
	v_mul_f64 v[34:35], v[22:23], v[10:11]
	v_fmac_f64_e32 v[34:35], v[8:9], v[20:21]
	v_mul_f64 v[8:9], v[22:23], -v[8:9]
	v_fmac_f64_e32 v[8:9], v[10:11], v[20:21]
	v_mul_f64 v[20:21], v[32:33], v[8:9]
	ds_read_b128 v[8:11], v40
	s_waitcnt lgkmcnt(2)
	v_mul_f64 v[22:23], v[28:29], -v[14:15]
	v_fmac_f64_e32 v[22:23], v[12:13], v[30:31]
	v_mul_f64 v[12:13], v[28:29], v[12:13]
	v_fmac_f64_e32 v[12:13], v[14:15], v[30:31]
	v_mul_f64 v[34:35], v[32:33], v[34:35]
	v_add_f64 v[14:15], v[2:3], -v[22:23]
	v_add_f64 v[22:23], v[4:5], -v[12:13]
	ds_read_b128 v[2:5], v40 offset:32768
	s_waitcnt lgkmcnt(1)
	v_mul_f64 v[12:13], v[20:21], -v[10:11]
	v_mul_f64 v[32:33], v[20:21], v[8:9]
	v_fmac_f64_e32 v[12:13], v[8:9], v[34:35]
	v_fmac_f64_e32 v[32:33], v[10:11], v[34:35]
	ds_read_b128 v[8:11], v38 offset:30704
	v_add_f64 v[12:13], v[14:15], -v[12:13]
	v_add_f64 v[14:15], v[22:23], -v[32:33]
	ds_write_b128 v38, v[12:15] offset:8176
	ds_read_b128 v[12:15], v38 offset:32752
	s_waitcnt lgkmcnt(2)
	v_mul_f64 v[22:23], v[28:29], -v[10:11]
	v_fmac_f64_e32 v[22:23], v[8:9], v[30:31]
	v_mul_f64 v[8:9], v[28:29], v[8:9]
	v_fmac_f64_e32 v[8:9], v[10:11], v[30:31]
	s_waitcnt lgkmcnt(0)
	v_add_f64 v[10:11], v[12:13], -v[22:23]
	v_add_f64 v[8:9], v[14:15], -v[8:9]
	v_mul_f64 v[12:13], v[20:21], -v[4:5]
	v_mul_f64 v[14:15], v[20:21], v[2:3]
	v_fmac_f64_e32 v[12:13], v[2:3], v[34:35]
	v_fmac_f64_e32 v[14:15], v[4:5], v[34:35]
	v_add_f64 v[2:3], v[10:11], -v[12:13]
	v_add_f64 v[4:5], v[8:9], -v[14:15]
	ds_write_b128 v38, v[2:5] offset:32752
	v_mul_f64 v[2:3], v[28:29], v[18:19]
	v_mul_f64 v[4:5], v[28:29], -v[16:17]
	v_fma_f64 v[2:3], -v[16:17], v[30:31], v[2:3]
	v_fma_f64 v[4:5], -v[18:19], v[30:31], v[4:5]
	ds_write_b128 v39, v[2:5]
	v_mul_f64 v[2:3], v[20:21], v[26:27]
	v_mul_f64 v[4:5], v[20:21], -v[24:25]
	v_fma_f64 v[2:3], -v[24:25], v[34:35], v[2:3]
	v_fma_f64 v[4:5], -v[26:27], v[34:35], v[4:5]
	ds_write_b128 v38, v[2:5] offset:16368
.LBB81_16:
	s_or_b64 exec, exec, s[12:13]
	v_cmp_ne_u32_e64 s[12:13], 0, v0
	v_cmp_eq_u32_e32 vcc, 0, v0
	s_waitcnt lgkmcnt(0)
	s_barrier
	s_and_saveexec_b64 s[22:23], vcc
	s_cbranch_execz .LBB81_18
; %bb.17:
	v_mov_b32_e32 v34, 0
	ds_read_b128 v[2:5], v34 offset:16368
	ds_read_b128 v[8:11], v34 offset:12272
	;; [unrolled: 1-line block ×4, first 2 shown]
	s_waitcnt lgkmcnt(2)
	v_mul_f64 v[22:23], v[10:11], v[2:3]
	v_mul_f64 v[20:21], v[10:11], -v[4:5]
	s_waitcnt lgkmcnt(0)
	v_mul_f64 v[26:27], v[14:15], v[16:17]
	v_fmac_f64_e32 v[22:23], v[4:5], v[8:9]
	v_mul_f64 v[24:25], v[14:15], -v[18:19]
	v_fmac_f64_e32 v[26:27], v[18:19], v[12:13]
	v_fmac_f64_e32 v[20:21], v[2:3], v[8:9]
	v_fmac_f64_e32 v[24:25], v[16:17], v[12:13]
	v_add_f64 v[26:27], v[22:23], -v[26:27]
	v_add_f64 v[24:25], v[20:21], -v[24:25]
	v_mul_f64 v[20:21], v[26:27], v[26:27]
	v_fmac_f64_e32 v[20:21], v[24:25], v[24:25]
	v_div_scale_f64 v[22:23], s[24:25], v[20:21], v[20:21], 1.0
	v_rcp_f64_e32 v[28:29], v[22:23]
	v_fma_f64 v[30:31], -v[22:23], v[28:29], 1.0
	v_fmac_f64_e32 v[28:29], v[28:29], v[30:31]
	v_fma_f64 v[30:31], -v[22:23], v[28:29], 1.0
	v_fmac_f64_e32 v[28:29], v[28:29], v[30:31]
	v_div_scale_f64 v[30:31], vcc, 1.0, v[20:21], 1.0
	v_mul_f64 v[32:33], v[30:31], v[28:29]
	v_fma_f64 v[22:23], -v[22:23], v[32:33], v[30:31]
	v_fma_f64 v[30:31], 0, v[26:27], v[24:25]
	s_nop 0
	v_div_fmas_f64 v[22:23], v[22:23], v[28:29], v[32:33]
	v_div_fixup_f64 v[28:29], v[22:23], v[20:21], 1.0
	ds_read_b128 v[20:23], v34 offset:36848
	v_fma_f64 v[24:25], v[24:25], 0, -v[26:27]
	v_mul_f64 v[30:31], v[30:31], v[28:29]
	v_mul_f64 v[28:29], v[24:25], v[28:29]
	ds_read_b128 v[24:27], v34 offset:40944
	s_waitcnt lgkmcnt(1)
	v_mul_f64 v[32:33], v[22:23], -v[4:5]
	v_fmac_f64_e32 v[32:33], v[2:3], v[20:21]
	v_mul_f64 v[2:3], v[2:3], v[22:23]
	v_fmac_f64_e32 v[2:3], v[4:5], v[20:21]
	s_waitcnt lgkmcnt(0)
	v_mul_f64 v[4:5], v[26:27], -v[18:19]
	v_fmac_f64_e32 v[4:5], v[16:17], v[24:25]
	v_mul_f64 v[16:17], v[16:17], v[26:27]
	v_fmac_f64_e32 v[16:17], v[18:19], v[24:25]
	v_add_f64 v[16:17], v[2:3], -v[16:17]
	v_add_f64 v[4:5], v[32:33], -v[4:5]
	v_mul_f64 v[2:3], v[28:29], -v[16:17]
	v_fmac_f64_e32 v[2:3], v[4:5], v[30:31]
	v_mul_f64 v[4:5], v[28:29], v[4:5]
	v_fmac_f64_e32 v[4:5], v[16:17], v[30:31]
	ds_write_b128 v34, v[2:5] offset:28656
	v_mul_f64 v[2:3], v[10:11], -v[26:27]
	v_mul_f64 v[4:5], v[10:11], v[24:25]
	v_fmac_f64_e32 v[2:3], v[24:25], v[8:9]
	v_fmac_f64_e32 v[4:5], v[26:27], v[8:9]
	v_mul_f64 v[8:9], v[14:15], -v[22:23]
	v_mul_f64 v[10:11], v[14:15], v[20:21]
	v_fmac_f64_e32 v[8:9], v[20:21], v[12:13]
	v_fmac_f64_e32 v[10:11], v[22:23], v[12:13]
	v_add_f64 v[8:9], v[2:3], -v[8:9]
	v_add_f64 v[10:11], v[4:5], -v[10:11]
	v_mul_f64 v[2:3], v[28:29], -v[10:11]
	v_mul_f64 v[4:5], v[28:29], v[8:9]
	v_fmac_f64_e32 v[2:3], v[8:9], v[30:31]
	v_fmac_f64_e32 v[4:5], v[10:11], v[30:31]
	ds_write_b128 v34, v[2:5] offset:32752
.LBB81_18:
	s_or_b64 exec, exec, s[22:23]
	s_load_dwordx2 s[22:23], s[4:5], 0x30
	s_waitcnt lgkmcnt(0)
	s_barrier
	s_and_saveexec_b64 s[24:25], s[18:19]
	s_cbranch_execz .LBB81_24
; %bb.19:
	v_lshlrev_b32_e32 v2, 8, v0
	v_lshlrev_b32_e32 v8, 4, v2
                                        ; implicit-def: $vgpr4_vgpr5
	s_and_saveexec_b64 s[18:19], s[12:13]
	s_xor_b64 s[18:19], exec, s[18:19]
	s_cbranch_execz .LBB81_21
; %bb.20:
	ds_read_b128 v[2:5], v8 offset:24560
	ds_read_b128 v[10:13], v8 offset:2032
	;; [unrolled: 1-line block ×5, first 2 shown]
	s_waitcnt lgkmcnt(3)
	v_mul_f64 v[26:27], v[4:5], -v[12:13]
	v_mul_f64 v[4:5], v[4:5], v[10:11]
	v_fmac_f64_e32 v[26:27], v[10:11], v[2:3]
	v_fmac_f64_e32 v[4:5], v[12:13], v[2:3]
	ds_read_b128 v[10:13], v8 offset:10224
	s_waitcnt lgkmcnt(3)
	v_add_f64 v[2:3], v[14:15], -v[26:27]
	v_add_f64 v[4:5], v[16:17], -v[4:5]
	s_waitcnt lgkmcnt(1)
	v_mul_f64 v[14:15], v[20:21], -v[24:25]
	v_mul_f64 v[16:17], v[20:21], v[22:23]
	s_waitcnt lgkmcnt(0)
	v_mul_f64 v[20:21], v[12:13], v[12:13]
	v_fmac_f64_e32 v[20:21], v[10:11], v[10:11]
	v_fmac_f64_e32 v[14:15], v[22:23], v[18:19]
	v_div_scale_f64 v[22:23], s[26:27], v[20:21], v[20:21], 1.0
	v_rcp_f64_e32 v[26:27], v[22:23]
	v_add_f64 v[14:15], v[2:3], -v[14:15]
	v_fmac_f64_e32 v[16:17], v[24:25], v[18:19]
	v_add_f64 v[4:5], v[4:5], -v[16:17]
	v_fma_f64 v[2:3], -v[22:23], v[26:27], 1.0
	v_fmac_f64_e32 v[26:27], v[26:27], v[2:3]
	v_fma_f64 v[2:3], -v[22:23], v[26:27], 1.0
	v_fmac_f64_e32 v[26:27], v[26:27], v[2:3]
	v_div_scale_f64 v[2:3], vcc, 1.0, v[20:21], 1.0
	v_mul_f64 v[16:17], v[2:3], v[26:27]
	v_fma_f64 v[2:3], -v[22:23], v[16:17], v[2:3]
	s_nop 1
	v_div_fmas_f64 v[2:3], v[2:3], v[26:27], v[16:17]
	v_div_fixup_f64 v[16:17], v[2:3], v[20:21], 1.0
	v_mul_f64 v[2:3], v[4:5], v[12:13]
	v_mul_f64 v[12:13], v[12:13], -v[14:15]
	v_fmac_f64_e32 v[2:3], v[14:15], v[10:11]
	v_fmac_f64_e32 v[12:13], v[4:5], v[10:11]
	v_mul_f64 v[2:3], v[2:3], v[16:17]
	v_mul_f64 v[4:5], v[16:17], v[12:13]
.LBB81_21:
	s_andn2_saveexec_b64 s[18:19], s[18:19]
	s_cbranch_execz .LBB81_23
; %bb.22:
	ds_read_b128 v[2:5], v8 offset:28656
	ds_read_b128 v[10:13], v8 offset:18416
	;; [unrolled: 1-line block ×4, first 2 shown]
	s_waitcnt lgkmcnt(2)
	v_mul_f64 v[22:23], v[4:5], -v[12:13]
	v_mul_f64 v[4:5], v[4:5], v[10:11]
	v_fmac_f64_e32 v[22:23], v[10:11], v[2:3]
	s_waitcnt lgkmcnt(1)
	v_mul_f64 v[10:11], v[16:17], v[16:17]
	v_fmac_f64_e32 v[10:11], v[14:15], v[14:15]
	v_div_scale_f64 v[24:25], s[26:27], v[10:11], v[10:11], 1.0
	v_rcp_f64_e32 v[26:27], v[24:25]
	v_fmac_f64_e32 v[4:5], v[12:13], v[2:3]
	s_waitcnt lgkmcnt(0)
	v_add_f64 v[12:13], v[18:19], -v[22:23]
	v_add_f64 v[4:5], v[20:21], -v[4:5]
	v_fma_f64 v[2:3], -v[24:25], v[26:27], 1.0
	v_fmac_f64_e32 v[26:27], v[26:27], v[2:3]
	v_fma_f64 v[2:3], -v[24:25], v[26:27], 1.0
	v_fmac_f64_e32 v[26:27], v[26:27], v[2:3]
	v_div_scale_f64 v[2:3], vcc, 1.0, v[10:11], 1.0
	v_mul_f64 v[18:19], v[2:3], v[26:27]
	v_fma_f64 v[2:3], -v[24:25], v[18:19], v[2:3]
	s_nop 1
	v_div_fmas_f64 v[2:3], v[2:3], v[26:27], v[18:19]
	v_div_fixup_f64 v[10:11], v[2:3], v[10:11], 1.0
	v_mul_f64 v[2:3], v[4:5], v[16:17]
	v_fmac_f64_e32 v[2:3], v[12:13], v[14:15]
	v_mul_f64 v[12:13], v[16:17], -v[12:13]
	v_fmac_f64_e32 v[12:13], v[4:5], v[14:15]
	v_mul_f64 v[2:3], v[2:3], v[10:11]
	v_mul_f64 v[4:5], v[12:13], v[10:11]
.LBB81_23:
	s_or_b64 exec, exec, s[18:19]
	ds_write_b128 v8, v[2:5] offset:26608
.LBB81_24:
	s_or_b64 exec, exec, s[24:25]
	v_or_b32_e32 v9, 0x6000, v1
	v_or_b32_e32 v8, 0x7000, v1
	s_waitcnt lgkmcnt(0)
	s_barrier
	s_and_saveexec_b64 s[18:19], s[16:17]
	s_cbranch_execz .LBB81_30
; %bb.25:
	v_lshlrev_b32_e32 v2, 7, v0
	v_lshlrev_b32_e32 v10, 4, v2
                                        ; implicit-def: $vgpr4_vgpr5
	s_and_saveexec_b64 s[16:17], s[12:13]
	s_xor_b64 s[16:17], exec, s[16:17]
	s_cbranch_execz .LBB81_27
; %bb.26:
	ds_read_b128 v[2:5], v10 offset:24560
	ds_read_b128 v[12:15], v10 offset:1008
	;; [unrolled: 1-line block ×5, first 2 shown]
	s_waitcnt lgkmcnt(3)
	v_mul_f64 v[28:29], v[4:5], -v[14:15]
	v_mul_f64 v[4:5], v[4:5], v[12:13]
	v_fmac_f64_e32 v[28:29], v[12:13], v[2:3]
	v_fmac_f64_e32 v[4:5], v[14:15], v[2:3]
	ds_read_b128 v[12:15], v10 offset:9200
	s_waitcnt lgkmcnt(3)
	v_add_f64 v[2:3], v[16:17], -v[28:29]
	v_add_f64 v[4:5], v[18:19], -v[4:5]
	s_waitcnt lgkmcnt(1)
	v_mul_f64 v[16:17], v[22:23], -v[26:27]
	v_mul_f64 v[18:19], v[22:23], v[24:25]
	s_waitcnt lgkmcnt(0)
	v_mul_f64 v[22:23], v[14:15], v[14:15]
	v_fmac_f64_e32 v[22:23], v[12:13], v[12:13]
	v_fmac_f64_e32 v[16:17], v[24:25], v[20:21]
	v_div_scale_f64 v[24:25], s[24:25], v[22:23], v[22:23], 1.0
	v_rcp_f64_e32 v[28:29], v[24:25]
	v_add_f64 v[16:17], v[2:3], -v[16:17]
	v_fmac_f64_e32 v[18:19], v[26:27], v[20:21]
	v_add_f64 v[4:5], v[4:5], -v[18:19]
	v_fma_f64 v[2:3], -v[24:25], v[28:29], 1.0
	v_fmac_f64_e32 v[28:29], v[28:29], v[2:3]
	v_fma_f64 v[2:3], -v[24:25], v[28:29], 1.0
	v_fmac_f64_e32 v[28:29], v[28:29], v[2:3]
	v_div_scale_f64 v[2:3], vcc, 1.0, v[22:23], 1.0
	v_mul_f64 v[18:19], v[2:3], v[28:29]
	v_fma_f64 v[2:3], -v[24:25], v[18:19], v[2:3]
	s_nop 1
	v_div_fmas_f64 v[2:3], v[2:3], v[28:29], v[18:19]
	v_div_fixup_f64 v[18:19], v[2:3], v[22:23], 1.0
	v_mul_f64 v[2:3], v[4:5], v[14:15]
	v_mul_f64 v[14:15], v[14:15], -v[16:17]
	v_fmac_f64_e32 v[2:3], v[16:17], v[12:13]
	v_fmac_f64_e32 v[14:15], v[4:5], v[12:13]
	v_mul_f64 v[2:3], v[2:3], v[18:19]
	v_mul_f64 v[4:5], v[18:19], v[14:15]
.LBB81_27:
	s_andn2_saveexec_b64 s[16:17], s[16:17]
	s_cbranch_execz .LBB81_29
; %bb.28:
	ds_read_b128 v[2:5], v10 offset:26608
	ds_read_b128 v[12:15], v10 offset:17392
	;; [unrolled: 1-line block ×4, first 2 shown]
	s_waitcnt lgkmcnt(2)
	v_mul_f64 v[24:25], v[4:5], -v[14:15]
	v_mul_f64 v[4:5], v[4:5], v[12:13]
	v_fmac_f64_e32 v[24:25], v[12:13], v[2:3]
	s_waitcnt lgkmcnt(1)
	v_mul_f64 v[12:13], v[18:19], v[18:19]
	v_fmac_f64_e32 v[12:13], v[16:17], v[16:17]
	v_div_scale_f64 v[26:27], s[24:25], v[12:13], v[12:13], 1.0
	v_rcp_f64_e32 v[28:29], v[26:27]
	v_fmac_f64_e32 v[4:5], v[14:15], v[2:3]
	s_waitcnt lgkmcnt(0)
	v_add_f64 v[14:15], v[20:21], -v[24:25]
	v_add_f64 v[4:5], v[22:23], -v[4:5]
	v_fma_f64 v[2:3], -v[26:27], v[28:29], 1.0
	v_fmac_f64_e32 v[28:29], v[28:29], v[2:3]
	v_fma_f64 v[2:3], -v[26:27], v[28:29], 1.0
	v_fmac_f64_e32 v[28:29], v[28:29], v[2:3]
	v_div_scale_f64 v[2:3], vcc, 1.0, v[12:13], 1.0
	v_mul_f64 v[20:21], v[2:3], v[28:29]
	v_fma_f64 v[2:3], -v[26:27], v[20:21], v[2:3]
	s_nop 1
	v_div_fmas_f64 v[2:3], v[2:3], v[28:29], v[20:21]
	v_div_fixup_f64 v[12:13], v[2:3], v[12:13], 1.0
	v_mul_f64 v[2:3], v[4:5], v[18:19]
	v_fmac_f64_e32 v[2:3], v[14:15], v[16:17]
	v_mul_f64 v[14:15], v[18:19], -v[14:15]
	v_fmac_f64_e32 v[14:15], v[4:5], v[16:17]
	v_mul_f64 v[2:3], v[2:3], v[12:13]
	v_mul_f64 v[4:5], v[14:15], v[12:13]
.LBB81_29:
	s_or_b64 exec, exec, s[16:17]
	ds_write_b128 v10, v[2:5] offset:25584
.LBB81_30:
	s_or_b64 exec, exec, s[18:19]
	s_waitcnt lgkmcnt(0)
	s_barrier
	s_and_saveexec_b64 s[16:17], s[14:15]
	s_cbranch_execz .LBB81_36
; %bb.31:
	v_lshlrev_b32_e32 v2, 6, v0
	v_lshlrev_b32_e32 v10, 4, v2
                                        ; implicit-def: $vgpr4_vgpr5
	s_and_saveexec_b64 s[14:15], s[12:13]
	s_xor_b64 s[14:15], exec, s[14:15]
	s_cbranch_execz .LBB81_33
; %bb.32:
	ds_read_b128 v[2:5], v10 offset:24560
	ds_read_b128 v[12:15], v10 offset:496
	;; [unrolled: 1-line block ×5, first 2 shown]
	s_waitcnt lgkmcnt(3)
	v_mul_f64 v[28:29], v[4:5], -v[14:15]
	v_mul_f64 v[4:5], v[4:5], v[12:13]
	v_fmac_f64_e32 v[28:29], v[12:13], v[2:3]
	v_fmac_f64_e32 v[4:5], v[14:15], v[2:3]
	ds_read_b128 v[12:15], v10 offset:8688
	s_waitcnt lgkmcnt(3)
	v_add_f64 v[2:3], v[16:17], -v[28:29]
	v_add_f64 v[4:5], v[18:19], -v[4:5]
	s_waitcnt lgkmcnt(1)
	v_mul_f64 v[16:17], v[22:23], -v[26:27]
	v_mul_f64 v[18:19], v[22:23], v[24:25]
	s_waitcnt lgkmcnt(0)
	v_mul_f64 v[22:23], v[14:15], v[14:15]
	v_fmac_f64_e32 v[22:23], v[12:13], v[12:13]
	v_fmac_f64_e32 v[16:17], v[24:25], v[20:21]
	v_div_scale_f64 v[24:25], s[18:19], v[22:23], v[22:23], 1.0
	v_rcp_f64_e32 v[28:29], v[24:25]
	v_add_f64 v[16:17], v[2:3], -v[16:17]
	v_fmac_f64_e32 v[18:19], v[26:27], v[20:21]
	v_add_f64 v[4:5], v[4:5], -v[18:19]
	v_fma_f64 v[2:3], -v[24:25], v[28:29], 1.0
	v_fmac_f64_e32 v[28:29], v[28:29], v[2:3]
	v_fma_f64 v[2:3], -v[24:25], v[28:29], 1.0
	v_fmac_f64_e32 v[28:29], v[28:29], v[2:3]
	v_div_scale_f64 v[2:3], vcc, 1.0, v[22:23], 1.0
	v_mul_f64 v[18:19], v[2:3], v[28:29]
	v_fma_f64 v[2:3], -v[24:25], v[18:19], v[2:3]
	s_nop 1
	v_div_fmas_f64 v[2:3], v[2:3], v[28:29], v[18:19]
	v_div_fixup_f64 v[18:19], v[2:3], v[22:23], 1.0
	v_mul_f64 v[2:3], v[4:5], v[14:15]
	v_mul_f64 v[14:15], v[14:15], -v[16:17]
	v_fmac_f64_e32 v[2:3], v[16:17], v[12:13]
	v_fmac_f64_e32 v[14:15], v[4:5], v[12:13]
	v_mul_f64 v[2:3], v[2:3], v[18:19]
	v_mul_f64 v[4:5], v[18:19], v[14:15]
.LBB81_33:
	s_andn2_saveexec_b64 s[14:15], s[14:15]
	s_cbranch_execz .LBB81_35
; %bb.34:
	ds_read_b128 v[2:5], v10 offset:25584
	ds_read_b128 v[12:15], v10 offset:16880
	;; [unrolled: 1-line block ×4, first 2 shown]
	s_waitcnt lgkmcnt(2)
	v_mul_f64 v[24:25], v[4:5], -v[14:15]
	v_mul_f64 v[4:5], v[4:5], v[12:13]
	v_fmac_f64_e32 v[24:25], v[12:13], v[2:3]
	s_waitcnt lgkmcnt(1)
	v_mul_f64 v[12:13], v[18:19], v[18:19]
	v_fmac_f64_e32 v[12:13], v[16:17], v[16:17]
	v_div_scale_f64 v[26:27], s[18:19], v[12:13], v[12:13], 1.0
	v_rcp_f64_e32 v[28:29], v[26:27]
	v_fmac_f64_e32 v[4:5], v[14:15], v[2:3]
	s_waitcnt lgkmcnt(0)
	v_add_f64 v[14:15], v[20:21], -v[24:25]
	v_add_f64 v[4:5], v[22:23], -v[4:5]
	v_fma_f64 v[2:3], -v[26:27], v[28:29], 1.0
	v_fmac_f64_e32 v[28:29], v[28:29], v[2:3]
	v_fma_f64 v[2:3], -v[26:27], v[28:29], 1.0
	v_fmac_f64_e32 v[28:29], v[28:29], v[2:3]
	v_div_scale_f64 v[2:3], vcc, 1.0, v[12:13], 1.0
	v_mul_f64 v[20:21], v[2:3], v[28:29]
	v_fma_f64 v[2:3], -v[26:27], v[20:21], v[2:3]
	s_nop 1
	v_div_fmas_f64 v[2:3], v[2:3], v[28:29], v[20:21]
	v_div_fixup_f64 v[12:13], v[2:3], v[12:13], 1.0
	v_mul_f64 v[2:3], v[4:5], v[18:19]
	v_fmac_f64_e32 v[2:3], v[14:15], v[16:17]
	v_mul_f64 v[14:15], v[18:19], -v[14:15]
	v_fmac_f64_e32 v[14:15], v[4:5], v[16:17]
	v_mul_f64 v[2:3], v[2:3], v[12:13]
	v_mul_f64 v[4:5], v[14:15], v[12:13]
.LBB81_35:
	s_or_b64 exec, exec, s[14:15]
	ds_write_b128 v10, v[2:5] offset:25072
.LBB81_36:
	s_or_b64 exec, exec, s[16:17]
	s_waitcnt lgkmcnt(0)
	s_barrier
	s_and_saveexec_b64 s[14:15], s[10:11]
	s_cbranch_execz .LBB81_42
; %bb.37:
	v_lshlrev_b32_e32 v2, 5, v0
	v_lshlrev_b32_e32 v10, 4, v2
                                        ; implicit-def: $vgpr4_vgpr5
	s_and_saveexec_b64 s[10:11], s[12:13]
	s_xor_b64 s[10:11], exec, s[10:11]
	s_cbranch_execz .LBB81_39
; %bb.38:
	ds_read_b128 v[2:5], v10 offset:24560
	ds_read_b128 v[12:15], v10 offset:240
	;; [unrolled: 1-line block ×5, first 2 shown]
	s_waitcnt lgkmcnt(3)
	v_mul_f64 v[28:29], v[4:5], -v[14:15]
	v_mul_f64 v[4:5], v[4:5], v[12:13]
	v_fmac_f64_e32 v[28:29], v[12:13], v[2:3]
	v_fmac_f64_e32 v[4:5], v[14:15], v[2:3]
	ds_read_b128 v[12:15], v10 offset:8432
	s_waitcnt lgkmcnt(3)
	v_add_f64 v[2:3], v[16:17], -v[28:29]
	v_add_f64 v[4:5], v[18:19], -v[4:5]
	s_waitcnt lgkmcnt(1)
	v_mul_f64 v[16:17], v[22:23], -v[26:27]
	v_mul_f64 v[18:19], v[22:23], v[24:25]
	s_waitcnt lgkmcnt(0)
	v_mul_f64 v[22:23], v[14:15], v[14:15]
	v_fmac_f64_e32 v[22:23], v[12:13], v[12:13]
	v_fmac_f64_e32 v[16:17], v[24:25], v[20:21]
	v_div_scale_f64 v[24:25], s[16:17], v[22:23], v[22:23], 1.0
	v_rcp_f64_e32 v[28:29], v[24:25]
	v_add_f64 v[16:17], v[2:3], -v[16:17]
	v_fmac_f64_e32 v[18:19], v[26:27], v[20:21]
	v_add_f64 v[4:5], v[4:5], -v[18:19]
	v_fma_f64 v[2:3], -v[24:25], v[28:29], 1.0
	v_fmac_f64_e32 v[28:29], v[28:29], v[2:3]
	v_fma_f64 v[2:3], -v[24:25], v[28:29], 1.0
	v_fmac_f64_e32 v[28:29], v[28:29], v[2:3]
	v_div_scale_f64 v[2:3], vcc, 1.0, v[22:23], 1.0
	v_mul_f64 v[18:19], v[2:3], v[28:29]
	v_fma_f64 v[2:3], -v[24:25], v[18:19], v[2:3]
	s_nop 1
	v_div_fmas_f64 v[2:3], v[2:3], v[28:29], v[18:19]
	v_div_fixup_f64 v[18:19], v[2:3], v[22:23], 1.0
	v_mul_f64 v[2:3], v[4:5], v[14:15]
	v_mul_f64 v[14:15], v[14:15], -v[16:17]
	v_fmac_f64_e32 v[2:3], v[16:17], v[12:13]
	v_fmac_f64_e32 v[14:15], v[4:5], v[12:13]
	v_mul_f64 v[2:3], v[2:3], v[18:19]
	v_mul_f64 v[4:5], v[18:19], v[14:15]
.LBB81_39:
	s_andn2_saveexec_b64 s[10:11], s[10:11]
	s_cbranch_execz .LBB81_41
; %bb.40:
	ds_read_b128 v[2:5], v10 offset:25072
	ds_read_b128 v[12:15], v10 offset:16624
	;; [unrolled: 1-line block ×4, first 2 shown]
	s_waitcnt lgkmcnt(2)
	v_mul_f64 v[24:25], v[4:5], -v[14:15]
	v_mul_f64 v[4:5], v[4:5], v[12:13]
	v_fmac_f64_e32 v[24:25], v[12:13], v[2:3]
	s_waitcnt lgkmcnt(1)
	v_mul_f64 v[12:13], v[18:19], v[18:19]
	v_fmac_f64_e32 v[12:13], v[16:17], v[16:17]
	v_div_scale_f64 v[26:27], s[16:17], v[12:13], v[12:13], 1.0
	v_rcp_f64_e32 v[28:29], v[26:27]
	v_fmac_f64_e32 v[4:5], v[14:15], v[2:3]
	s_waitcnt lgkmcnt(0)
	v_add_f64 v[14:15], v[20:21], -v[24:25]
	v_add_f64 v[4:5], v[22:23], -v[4:5]
	v_fma_f64 v[2:3], -v[26:27], v[28:29], 1.0
	v_fmac_f64_e32 v[28:29], v[28:29], v[2:3]
	v_fma_f64 v[2:3], -v[26:27], v[28:29], 1.0
	v_fmac_f64_e32 v[28:29], v[28:29], v[2:3]
	v_div_scale_f64 v[2:3], vcc, 1.0, v[12:13], 1.0
	v_mul_f64 v[20:21], v[2:3], v[28:29]
	v_fma_f64 v[2:3], -v[26:27], v[20:21], v[2:3]
	s_nop 1
	v_div_fmas_f64 v[2:3], v[2:3], v[28:29], v[20:21]
	v_div_fixup_f64 v[12:13], v[2:3], v[12:13], 1.0
	v_mul_f64 v[2:3], v[4:5], v[18:19]
	v_fmac_f64_e32 v[2:3], v[14:15], v[16:17]
	v_mul_f64 v[14:15], v[18:19], -v[14:15]
	v_fmac_f64_e32 v[14:15], v[4:5], v[16:17]
	v_mul_f64 v[2:3], v[2:3], v[12:13]
	v_mul_f64 v[4:5], v[14:15], v[12:13]
.LBB81_41:
	s_or_b64 exec, exec, s[10:11]
	ds_write_b128 v10, v[2:5] offset:24816
.LBB81_42:
	s_or_b64 exec, exec, s[14:15]
	s_waitcnt lgkmcnt(0)
	s_barrier
	s_and_saveexec_b64 s[10:11], s[8:9]
	s_cbranch_execz .LBB81_48
; %bb.43:
	v_lshlrev_b32_e32 v1, 4, v1
                                        ; implicit-def: $vgpr4_vgpr5
	s_and_saveexec_b64 s[8:9], s[12:13]
	s_xor_b64 s[8:9], exec, s[8:9]
	s_cbranch_execz .LBB81_45
; %bb.44:
	ds_read_b128 v[2:5], v1 offset:24560
	ds_read_b128 v[10:13], v1 offset:112
	;; [unrolled: 1-line block ×5, first 2 shown]
	s_waitcnt lgkmcnt(3)
	v_mul_f64 v[26:27], v[4:5], -v[12:13]
	v_mul_f64 v[4:5], v[4:5], v[10:11]
	v_fmac_f64_e32 v[26:27], v[10:11], v[2:3]
	v_fmac_f64_e32 v[4:5], v[12:13], v[2:3]
	ds_read_b128 v[10:13], v1 offset:8304
	s_waitcnt lgkmcnt(3)
	v_add_f64 v[2:3], v[14:15], -v[26:27]
	v_add_f64 v[4:5], v[16:17], -v[4:5]
	s_waitcnt lgkmcnt(1)
	v_mul_f64 v[14:15], v[20:21], -v[24:25]
	v_mul_f64 v[16:17], v[20:21], v[22:23]
	s_waitcnt lgkmcnt(0)
	v_mul_f64 v[20:21], v[12:13], v[12:13]
	v_fmac_f64_e32 v[20:21], v[10:11], v[10:11]
	v_fmac_f64_e32 v[14:15], v[22:23], v[18:19]
	v_div_scale_f64 v[22:23], s[14:15], v[20:21], v[20:21], 1.0
	v_rcp_f64_e32 v[26:27], v[22:23]
	v_add_f64 v[14:15], v[2:3], -v[14:15]
	v_fmac_f64_e32 v[16:17], v[24:25], v[18:19]
	v_add_f64 v[4:5], v[4:5], -v[16:17]
	v_fma_f64 v[2:3], -v[22:23], v[26:27], 1.0
	v_fmac_f64_e32 v[26:27], v[26:27], v[2:3]
	v_fma_f64 v[2:3], -v[22:23], v[26:27], 1.0
	v_fmac_f64_e32 v[26:27], v[26:27], v[2:3]
	v_div_scale_f64 v[2:3], vcc, 1.0, v[20:21], 1.0
	v_mul_f64 v[16:17], v[2:3], v[26:27]
	v_fma_f64 v[2:3], -v[22:23], v[16:17], v[2:3]
	s_nop 1
	v_div_fmas_f64 v[2:3], v[2:3], v[26:27], v[16:17]
	v_div_fixup_f64 v[16:17], v[2:3], v[20:21], 1.0
	v_mul_f64 v[2:3], v[4:5], v[12:13]
	v_mul_f64 v[12:13], v[12:13], -v[14:15]
	v_fmac_f64_e32 v[2:3], v[14:15], v[10:11]
	v_fmac_f64_e32 v[12:13], v[4:5], v[10:11]
	v_mul_f64 v[2:3], v[2:3], v[16:17]
	v_mul_f64 v[4:5], v[16:17], v[12:13]
.LBB81_45:
	s_andn2_saveexec_b64 s[8:9], s[8:9]
	s_cbranch_execz .LBB81_47
; %bb.46:
	ds_read_b128 v[2:5], v1 offset:24816
	ds_read_b128 v[10:13], v1 offset:16496
	;; [unrolled: 1-line block ×4, first 2 shown]
	s_waitcnt lgkmcnt(2)
	v_mul_f64 v[22:23], v[4:5], -v[12:13]
	v_mul_f64 v[4:5], v[4:5], v[10:11]
	v_fmac_f64_e32 v[22:23], v[10:11], v[2:3]
	s_waitcnt lgkmcnt(1)
	v_mul_f64 v[10:11], v[16:17], v[16:17]
	v_fmac_f64_e32 v[10:11], v[14:15], v[14:15]
	v_div_scale_f64 v[24:25], s[14:15], v[10:11], v[10:11], 1.0
	v_rcp_f64_e32 v[26:27], v[24:25]
	v_fmac_f64_e32 v[4:5], v[12:13], v[2:3]
	s_waitcnt lgkmcnt(0)
	v_add_f64 v[12:13], v[18:19], -v[22:23]
	v_add_f64 v[4:5], v[20:21], -v[4:5]
	v_fma_f64 v[2:3], -v[24:25], v[26:27], 1.0
	v_fmac_f64_e32 v[26:27], v[26:27], v[2:3]
	v_fma_f64 v[2:3], -v[24:25], v[26:27], 1.0
	v_fmac_f64_e32 v[26:27], v[26:27], v[2:3]
	v_div_scale_f64 v[2:3], vcc, 1.0, v[10:11], 1.0
	v_mul_f64 v[18:19], v[2:3], v[26:27]
	v_fma_f64 v[2:3], -v[24:25], v[18:19], v[2:3]
	s_nop 1
	v_div_fmas_f64 v[2:3], v[2:3], v[26:27], v[18:19]
	v_div_fixup_f64 v[10:11], v[2:3], v[10:11], 1.0
	v_mul_f64 v[2:3], v[4:5], v[16:17]
	v_fmac_f64_e32 v[2:3], v[12:13], v[14:15]
	v_mul_f64 v[12:13], v[16:17], -v[12:13]
	v_fmac_f64_e32 v[12:13], v[4:5], v[14:15]
	v_mul_f64 v[2:3], v[2:3], v[10:11]
	v_mul_f64 v[4:5], v[12:13], v[10:11]
.LBB81_47:
	s_or_b64 exec, exec, s[8:9]
	ds_write_b128 v1, v[2:5] offset:24688
.LBB81_48:
	s_or_b64 exec, exec, s[10:11]
	s_waitcnt lgkmcnt(0)
	s_barrier
	s_and_saveexec_b64 s[8:9], s[20:21]
	s_cbranch_execz .LBB81_54
; %bb.49:
	v_lshlrev_b32_e32 v1, 3, v0
	v_lshlrev_b32_e32 v1, 4, v1
                                        ; implicit-def: $vgpr4_vgpr5
	s_and_saveexec_b64 s[10:11], s[12:13]
	s_xor_b64 s[10:11], exec, s[10:11]
	s_cbranch_execz .LBB81_51
; %bb.50:
	ds_read_b128 v[2:5], v1 offset:24560
	ds_read_b128 v[10:13], v1 offset:48
	;; [unrolled: 1-line block ×5, first 2 shown]
	s_waitcnt lgkmcnt(3)
	v_mul_f64 v[26:27], v[4:5], -v[12:13]
	v_mul_f64 v[4:5], v[4:5], v[10:11]
	v_fmac_f64_e32 v[26:27], v[10:11], v[2:3]
	v_fmac_f64_e32 v[4:5], v[12:13], v[2:3]
	ds_read_b128 v[10:13], v1 offset:8240
	s_waitcnt lgkmcnt(3)
	v_add_f64 v[2:3], v[14:15], -v[26:27]
	v_add_f64 v[4:5], v[16:17], -v[4:5]
	s_waitcnt lgkmcnt(1)
	v_mul_f64 v[14:15], v[20:21], -v[24:25]
	v_mul_f64 v[16:17], v[20:21], v[22:23]
	s_waitcnt lgkmcnt(0)
	v_mul_f64 v[20:21], v[12:13], v[12:13]
	v_fmac_f64_e32 v[20:21], v[10:11], v[10:11]
	v_fmac_f64_e32 v[14:15], v[22:23], v[18:19]
	v_div_scale_f64 v[22:23], s[14:15], v[20:21], v[20:21], 1.0
	v_rcp_f64_e32 v[26:27], v[22:23]
	v_add_f64 v[14:15], v[2:3], -v[14:15]
	v_fmac_f64_e32 v[16:17], v[24:25], v[18:19]
	v_add_f64 v[4:5], v[4:5], -v[16:17]
	v_fma_f64 v[2:3], -v[22:23], v[26:27], 1.0
	v_fmac_f64_e32 v[26:27], v[26:27], v[2:3]
	v_fma_f64 v[2:3], -v[22:23], v[26:27], 1.0
	v_fmac_f64_e32 v[26:27], v[26:27], v[2:3]
	v_div_scale_f64 v[2:3], vcc, 1.0, v[20:21], 1.0
	v_mul_f64 v[16:17], v[2:3], v[26:27]
	v_fma_f64 v[2:3], -v[22:23], v[16:17], v[2:3]
	s_nop 1
	v_div_fmas_f64 v[2:3], v[2:3], v[26:27], v[16:17]
	v_div_fixup_f64 v[16:17], v[2:3], v[20:21], 1.0
	v_mul_f64 v[2:3], v[4:5], v[12:13]
	v_mul_f64 v[12:13], v[12:13], -v[14:15]
	v_fmac_f64_e32 v[2:3], v[14:15], v[10:11]
	v_fmac_f64_e32 v[12:13], v[4:5], v[10:11]
	v_mul_f64 v[2:3], v[2:3], v[16:17]
	v_mul_f64 v[4:5], v[16:17], v[12:13]
.LBB81_51:
	s_andn2_saveexec_b64 s[10:11], s[10:11]
	s_cbranch_execz .LBB81_53
; %bb.52:
	ds_read_b128 v[2:5], v1 offset:24688
	ds_read_b128 v[10:13], v1 offset:16432
	;; [unrolled: 1-line block ×4, first 2 shown]
	s_waitcnt lgkmcnt(2)
	v_mul_f64 v[22:23], v[4:5], -v[12:13]
	v_mul_f64 v[4:5], v[4:5], v[10:11]
	v_fmac_f64_e32 v[22:23], v[10:11], v[2:3]
	s_waitcnt lgkmcnt(1)
	v_mul_f64 v[10:11], v[16:17], v[16:17]
	v_fmac_f64_e32 v[10:11], v[14:15], v[14:15]
	v_div_scale_f64 v[24:25], s[14:15], v[10:11], v[10:11], 1.0
	v_rcp_f64_e32 v[26:27], v[24:25]
	v_fmac_f64_e32 v[4:5], v[12:13], v[2:3]
	s_waitcnt lgkmcnt(0)
	v_add_f64 v[12:13], v[18:19], -v[22:23]
	v_add_f64 v[4:5], v[20:21], -v[4:5]
	v_fma_f64 v[2:3], -v[24:25], v[26:27], 1.0
	v_fmac_f64_e32 v[26:27], v[26:27], v[2:3]
	v_fma_f64 v[2:3], -v[24:25], v[26:27], 1.0
	v_fmac_f64_e32 v[26:27], v[26:27], v[2:3]
	v_div_scale_f64 v[2:3], vcc, 1.0, v[10:11], 1.0
	v_mul_f64 v[18:19], v[2:3], v[26:27]
	v_fma_f64 v[2:3], -v[24:25], v[18:19], v[2:3]
	s_nop 1
	v_div_fmas_f64 v[2:3], v[2:3], v[26:27], v[18:19]
	v_div_fixup_f64 v[10:11], v[2:3], v[10:11], 1.0
	v_mul_f64 v[2:3], v[4:5], v[16:17]
	v_fmac_f64_e32 v[2:3], v[12:13], v[14:15]
	v_mul_f64 v[12:13], v[16:17], -v[12:13]
	v_fmac_f64_e32 v[12:13], v[4:5], v[14:15]
	v_mul_f64 v[2:3], v[2:3], v[10:11]
	v_mul_f64 v[4:5], v[12:13], v[10:11]
.LBB81_53:
	s_or_b64 exec, exec, s[10:11]
	ds_write_b128 v1, v[2:5] offset:24624
.LBB81_54:
	s_or_b64 exec, exec, s[8:9]
	s_waitcnt lgkmcnt(0)
	s_barrier
	s_and_saveexec_b64 s[8:9], s[2:3]
	s_cbranch_execz .LBB81_60
; %bb.55:
	v_lshlrev_b32_e32 v1, 2, v0
	v_lshlrev_b32_e32 v1, 4, v1
                                        ; implicit-def: $vgpr4_vgpr5
	s_and_saveexec_b64 s[2:3], s[12:13]
	s_xor_b64 s[2:3], exec, s[2:3]
	s_cbranch_execz .LBB81_57
; %bb.56:
	ds_read_b128 v[2:5], v1 offset:24560
	ds_read_b128 v[10:13], v1 offset:16
	;; [unrolled: 1-line block ×5, first 2 shown]
	s_waitcnt lgkmcnt(3)
	v_mul_f64 v[26:27], v[4:5], -v[12:13]
	v_mul_f64 v[4:5], v[4:5], v[10:11]
	v_fmac_f64_e32 v[26:27], v[10:11], v[2:3]
	v_fmac_f64_e32 v[4:5], v[12:13], v[2:3]
	ds_read_b128 v[10:13], v1 offset:8208
	s_waitcnt lgkmcnt(3)
	v_add_f64 v[2:3], v[14:15], -v[26:27]
	v_add_f64 v[4:5], v[16:17], -v[4:5]
	s_waitcnt lgkmcnt(1)
	v_mul_f64 v[14:15], v[20:21], -v[24:25]
	v_mul_f64 v[16:17], v[20:21], v[22:23]
	s_waitcnt lgkmcnt(0)
	v_mul_f64 v[20:21], v[12:13], v[12:13]
	v_fmac_f64_e32 v[20:21], v[10:11], v[10:11]
	v_fmac_f64_e32 v[14:15], v[22:23], v[18:19]
	v_div_scale_f64 v[22:23], s[10:11], v[20:21], v[20:21], 1.0
	v_rcp_f64_e32 v[26:27], v[22:23]
	v_add_f64 v[14:15], v[2:3], -v[14:15]
	v_fmac_f64_e32 v[16:17], v[24:25], v[18:19]
	v_add_f64 v[4:5], v[4:5], -v[16:17]
	v_fma_f64 v[2:3], -v[22:23], v[26:27], 1.0
	v_fmac_f64_e32 v[26:27], v[26:27], v[2:3]
	v_fma_f64 v[2:3], -v[22:23], v[26:27], 1.0
	v_fmac_f64_e32 v[26:27], v[26:27], v[2:3]
	v_div_scale_f64 v[2:3], vcc, 1.0, v[20:21], 1.0
	v_mul_f64 v[16:17], v[2:3], v[26:27]
	v_fma_f64 v[2:3], -v[22:23], v[16:17], v[2:3]
	s_nop 1
	v_div_fmas_f64 v[2:3], v[2:3], v[26:27], v[16:17]
	v_div_fixup_f64 v[16:17], v[2:3], v[20:21], 1.0
	v_mul_f64 v[2:3], v[4:5], v[12:13]
	v_mul_f64 v[12:13], v[12:13], -v[14:15]
	v_fmac_f64_e32 v[2:3], v[14:15], v[10:11]
	v_fmac_f64_e32 v[12:13], v[4:5], v[10:11]
	v_mul_f64 v[2:3], v[2:3], v[16:17]
	v_mul_f64 v[4:5], v[16:17], v[12:13]
.LBB81_57:
	s_andn2_saveexec_b64 s[2:3], s[2:3]
	s_cbranch_execz .LBB81_59
; %bb.58:
	ds_read_b128 v[2:5], v1 offset:24624
	ds_read_b128 v[10:13], v1 offset:16400
	;; [unrolled: 1-line block ×4, first 2 shown]
	s_waitcnt lgkmcnt(2)
	v_mul_f64 v[22:23], v[4:5], -v[12:13]
	v_mul_f64 v[4:5], v[4:5], v[10:11]
	v_fmac_f64_e32 v[22:23], v[10:11], v[2:3]
	s_waitcnt lgkmcnt(1)
	v_mul_f64 v[10:11], v[16:17], v[16:17]
	v_fmac_f64_e32 v[10:11], v[14:15], v[14:15]
	v_div_scale_f64 v[24:25], s[10:11], v[10:11], v[10:11], 1.0
	v_rcp_f64_e32 v[26:27], v[24:25]
	v_fmac_f64_e32 v[4:5], v[12:13], v[2:3]
	s_waitcnt lgkmcnt(0)
	v_add_f64 v[12:13], v[18:19], -v[22:23]
	v_add_f64 v[4:5], v[20:21], -v[4:5]
	v_fma_f64 v[2:3], -v[24:25], v[26:27], 1.0
	v_fmac_f64_e32 v[26:27], v[26:27], v[2:3]
	v_fma_f64 v[2:3], -v[24:25], v[26:27], 1.0
	v_fmac_f64_e32 v[26:27], v[26:27], v[2:3]
	v_div_scale_f64 v[2:3], vcc, 1.0, v[10:11], 1.0
	v_mul_f64 v[18:19], v[2:3], v[26:27]
	v_fma_f64 v[2:3], -v[24:25], v[18:19], v[2:3]
	s_nop 1
	v_div_fmas_f64 v[2:3], v[2:3], v[26:27], v[18:19]
	v_div_fixup_f64 v[10:11], v[2:3], v[10:11], 1.0
	v_mul_f64 v[2:3], v[4:5], v[16:17]
	v_fmac_f64_e32 v[2:3], v[12:13], v[14:15]
	v_mul_f64 v[12:13], v[16:17], -v[12:13]
	v_fmac_f64_e32 v[12:13], v[4:5], v[14:15]
	v_mul_f64 v[2:3], v[2:3], v[10:11]
	v_mul_f64 v[4:5], v[12:13], v[10:11]
.LBB81_59:
	s_or_b64 exec, exec, s[2:3]
	ds_write_b128 v1, v[2:5] offset:24592
.LBB81_60:
	s_or_b64 exec, exec, s[8:9]
	s_waitcnt lgkmcnt(0)
	s_barrier
	s_and_saveexec_b64 s[2:3], s[0:1]
	s_cbranch_execz .LBB81_66
; %bb.61:
	v_lshlrev_b32_e32 v0, 1, v0
	v_lshlrev_b32_e32 v4, 4, v0
                                        ; implicit-def: $vgpr2_vgpr3
	s_and_saveexec_b64 s[0:1], s[12:13]
	s_xor_b64 s[0:1], exec, s[0:1]
	s_cbranch_execz .LBB81_63
; %bb.62:
	ds_read_b128 v[0:3], v4 offset:24560
	ds_read_b128 v[10:13], v4
	ds_read_b128 v[14:17], v4 offset:32768
	ds_read_b128 v[18:21], v4 offset:24592
	;; [unrolled: 1-line block ×3, first 2 shown]
	s_waitcnt lgkmcnt(3)
	v_mul_f64 v[26:27], v[2:3], -v[12:13]
	v_mul_f64 v[2:3], v[2:3], v[10:11]
	v_fmac_f64_e32 v[26:27], v[10:11], v[0:1]
	v_fmac_f64_e32 v[2:3], v[12:13], v[0:1]
	ds_read_b128 v[10:13], v4 offset:8192
	s_waitcnt lgkmcnt(3)
	v_add_f64 v[0:1], v[14:15], -v[26:27]
	v_add_f64 v[2:3], v[16:17], -v[2:3]
	s_waitcnt lgkmcnt(1)
	v_mul_f64 v[14:15], v[20:21], -v[24:25]
	v_mul_f64 v[16:17], v[20:21], v[22:23]
	s_waitcnt lgkmcnt(0)
	v_mul_f64 v[20:21], v[12:13], v[12:13]
	v_fmac_f64_e32 v[20:21], v[10:11], v[10:11]
	v_fmac_f64_e32 v[14:15], v[22:23], v[18:19]
	v_div_scale_f64 v[22:23], s[8:9], v[20:21], v[20:21], 1.0
	v_rcp_f64_e32 v[26:27], v[22:23]
	v_add_f64 v[14:15], v[0:1], -v[14:15]
	v_fmac_f64_e32 v[16:17], v[24:25], v[18:19]
	v_add_f64 v[2:3], v[2:3], -v[16:17]
	v_fma_f64 v[0:1], -v[22:23], v[26:27], 1.0
	v_fmac_f64_e32 v[26:27], v[26:27], v[0:1]
	v_fma_f64 v[0:1], -v[22:23], v[26:27], 1.0
	v_fmac_f64_e32 v[26:27], v[26:27], v[0:1]
	v_div_scale_f64 v[0:1], vcc, 1.0, v[20:21], 1.0
	v_mul_f64 v[16:17], v[0:1], v[26:27]
	v_fma_f64 v[0:1], -v[22:23], v[16:17], v[0:1]
	s_nop 1
	v_div_fmas_f64 v[0:1], v[0:1], v[26:27], v[16:17]
	v_div_fixup_f64 v[16:17], v[0:1], v[20:21], 1.0
	v_mul_f64 v[0:1], v[2:3], v[12:13]
	v_mul_f64 v[12:13], v[12:13], -v[14:15]
	v_fmac_f64_e32 v[0:1], v[14:15], v[10:11]
	v_fmac_f64_e32 v[12:13], v[2:3], v[10:11]
	v_mul_f64 v[0:1], v[0:1], v[16:17]
	v_mul_f64 v[2:3], v[16:17], v[12:13]
.LBB81_63:
	s_andn2_saveexec_b64 s[0:1], s[0:1]
	s_cbranch_execz .LBB81_65
; %bb.64:
	ds_read_b128 v[0:3], v4 offset:24592
	ds_read_b128 v[10:13], v4 offset:16384
	;; [unrolled: 1-line block ×4, first 2 shown]
	s_waitcnt lgkmcnt(2)
	v_mul_f64 v[22:23], v[2:3], -v[12:13]
	v_mul_f64 v[2:3], v[2:3], v[10:11]
	v_fmac_f64_e32 v[22:23], v[10:11], v[0:1]
	s_waitcnt lgkmcnt(1)
	v_mul_f64 v[10:11], v[16:17], v[16:17]
	v_fmac_f64_e32 v[10:11], v[14:15], v[14:15]
	v_div_scale_f64 v[24:25], s[8:9], v[10:11], v[10:11], 1.0
	v_rcp_f64_e32 v[26:27], v[24:25]
	v_fmac_f64_e32 v[2:3], v[12:13], v[0:1]
	s_waitcnt lgkmcnt(0)
	v_add_f64 v[12:13], v[18:19], -v[22:23]
	v_add_f64 v[2:3], v[20:21], -v[2:3]
	v_fma_f64 v[0:1], -v[24:25], v[26:27], 1.0
	v_fmac_f64_e32 v[26:27], v[26:27], v[0:1]
	v_fma_f64 v[0:1], -v[24:25], v[26:27], 1.0
	v_fmac_f64_e32 v[26:27], v[26:27], v[0:1]
	v_div_scale_f64 v[0:1], vcc, 1.0, v[10:11], 1.0
	v_mul_f64 v[18:19], v[0:1], v[26:27]
	v_fma_f64 v[0:1], -v[24:25], v[18:19], v[0:1]
	s_nop 1
	v_div_fmas_f64 v[0:1], v[0:1], v[26:27], v[18:19]
	v_div_fixup_f64 v[10:11], v[0:1], v[10:11], 1.0
	v_mul_f64 v[0:1], v[2:3], v[16:17]
	v_fmac_f64_e32 v[0:1], v[12:13], v[14:15]
	v_mul_f64 v[12:13], v[16:17], -v[12:13]
	v_fmac_f64_e32 v[12:13], v[2:3], v[14:15]
	v_mul_f64 v[0:1], v[0:1], v[10:11]
	v_mul_f64 v[2:3], v[12:13], v[10:11]
.LBB81_65:
	s_or_b64 exec, exec, s[0:1]
	ds_write_b128 v4, v[0:3] offset:24576
.LBB81_66:
	s_or_b64 exec, exec, s[2:3]
	s_load_dword s0, s[4:5], 0x8
	s_waitcnt lgkmcnt(0)
	s_barrier
	v_mov_b32_e32 v5, 0
	s_mul_i32 s7, s7, s0
	v_add_u32_e32 v4, s7, v6
	ds_read2_b64 v[0:3], v9 offset1:1
	v_lshlrev_b64 v[10:11], 4, v[4:5]
	v_mov_b32_e32 v6, s23
	v_add_co_u32_e32 v12, vcc, s22, v10
	v_addc_co_u32_e32 v13, vcc, v6, v11, vcc
	ds_read2_b64 v[8:11], v8 offset1:1
	v_add_u32_e32 v4, s7, v7
	s_waitcnt lgkmcnt(1)
	global_store_dwordx4 v[12:13], v[0:3], off
	s_nop 0
	v_lshlrev_b64 v[0:1], 4, v[4:5]
	v_add_co_u32_e32 v0, vcc, s22, v0
	v_addc_co_u32_e32 v1, vcc, v6, v1, vcc
	s_waitcnt lgkmcnt(0)
	global_store_dwordx4 v[0:1], v[8:11], off
	s_endpgm
	.section	.rodata,"a",@progbits
	.p2align	6, 0x0
	.amdhsa_kernel _ZN9rocsparseL48gtsv_nopivot_strided_batch_cr_pow2_stage2_kernelILj256E21rocsparse_complex_numIdEEEviiiPKT0_S5_S5_S5_PS3_
		.amdhsa_group_segment_fixed_size 40960
		.amdhsa_private_segment_fixed_size 0
		.amdhsa_kernarg_size 312
		.amdhsa_user_sgpr_count 6
		.amdhsa_user_sgpr_private_segment_buffer 1
		.amdhsa_user_sgpr_dispatch_ptr 0
		.amdhsa_user_sgpr_queue_ptr 0
		.amdhsa_user_sgpr_kernarg_segment_ptr 1
		.amdhsa_user_sgpr_dispatch_id 0
		.amdhsa_user_sgpr_flat_scratch_init 0
		.amdhsa_user_sgpr_kernarg_preload_length 0
		.amdhsa_user_sgpr_kernarg_preload_offset 0
		.amdhsa_user_sgpr_private_segment_size 0
		.amdhsa_uses_dynamic_stack 0
		.amdhsa_system_sgpr_private_segment_wavefront_offset 0
		.amdhsa_system_sgpr_workgroup_id_x 1
		.amdhsa_system_sgpr_workgroup_id_y 1
		.amdhsa_system_sgpr_workgroup_id_z 0
		.amdhsa_system_sgpr_workgroup_info 0
		.amdhsa_system_vgpr_workitem_id 0
		.amdhsa_next_free_vgpr 48
		.amdhsa_next_free_sgpr 28
		.amdhsa_accum_offset 48
		.amdhsa_reserve_vcc 1
		.amdhsa_reserve_flat_scratch 0
		.amdhsa_float_round_mode_32 0
		.amdhsa_float_round_mode_16_64 0
		.amdhsa_float_denorm_mode_32 3
		.amdhsa_float_denorm_mode_16_64 3
		.amdhsa_dx10_clamp 1
		.amdhsa_ieee_mode 1
		.amdhsa_fp16_overflow 0
		.amdhsa_tg_split 0
		.amdhsa_exception_fp_ieee_invalid_op 0
		.amdhsa_exception_fp_denorm_src 0
		.amdhsa_exception_fp_ieee_div_zero 0
		.amdhsa_exception_fp_ieee_overflow 0
		.amdhsa_exception_fp_ieee_underflow 0
		.amdhsa_exception_fp_ieee_inexact 0
		.amdhsa_exception_int_div_zero 0
	.end_amdhsa_kernel
	.section	.text._ZN9rocsparseL48gtsv_nopivot_strided_batch_cr_pow2_stage2_kernelILj256E21rocsparse_complex_numIdEEEviiiPKT0_S5_S5_S5_PS3_,"axG",@progbits,_ZN9rocsparseL48gtsv_nopivot_strided_batch_cr_pow2_stage2_kernelILj256E21rocsparse_complex_numIdEEEviiiPKT0_S5_S5_S5_PS3_,comdat
.Lfunc_end81:
	.size	_ZN9rocsparseL48gtsv_nopivot_strided_batch_cr_pow2_stage2_kernelILj256E21rocsparse_complex_numIdEEEviiiPKT0_S5_S5_S5_PS3_, .Lfunc_end81-_ZN9rocsparseL48gtsv_nopivot_strided_batch_cr_pow2_stage2_kernelILj256E21rocsparse_complex_numIdEEEviiiPKT0_S5_S5_S5_PS3_
                                        ; -- End function
	.section	.AMDGPU.csdata,"",@progbits
; Kernel info:
; codeLenInByte = 11120
; NumSgprs: 32
; NumVgprs: 48
; NumAgprs: 0
; TotalNumVgprs: 48
; ScratchSize: 0
; MemoryBound: 0
; FloatMode: 240
; IeeeMode: 1
; LDSByteSize: 40960 bytes/workgroup (compile time only)
; SGPRBlocks: 3
; VGPRBlocks: 5
; NumSGPRsForWavesPerEU: 32
; NumVGPRsForWavesPerEU: 48
; AccumOffset: 48
; Occupancy: 1
; WaveLimiterHint : 0
; COMPUTE_PGM_RSRC2:SCRATCH_EN: 0
; COMPUTE_PGM_RSRC2:USER_SGPR: 6
; COMPUTE_PGM_RSRC2:TRAP_HANDLER: 0
; COMPUTE_PGM_RSRC2:TGID_X_EN: 1
; COMPUTE_PGM_RSRC2:TGID_Y_EN: 1
; COMPUTE_PGM_RSRC2:TGID_Z_EN: 0
; COMPUTE_PGM_RSRC2:TIDIG_COMP_CNT: 0
; COMPUTE_PGM_RSRC3_GFX90A:ACCUM_OFFSET: 11
; COMPUTE_PGM_RSRC3_GFX90A:TG_SPLIT: 0
	.section	.text._ZN9rocsparseL44gtsv_nopivot_strided_batch_pcr_stage1_kernelILj256E21rocsparse_complex_numIdEEEviiiiPKT0_S5_S5_S5_PS3_S6_S6_S6_,"axG",@progbits,_ZN9rocsparseL44gtsv_nopivot_strided_batch_pcr_stage1_kernelILj256E21rocsparse_complex_numIdEEEviiiiPKT0_S5_S5_S5_PS3_S6_S6_S6_,comdat
	.globl	_ZN9rocsparseL44gtsv_nopivot_strided_batch_pcr_stage1_kernelILj256E21rocsparse_complex_numIdEEEviiiiPKT0_S5_S5_S5_PS3_S6_S6_S6_ ; -- Begin function _ZN9rocsparseL44gtsv_nopivot_strided_batch_pcr_stage1_kernelILj256E21rocsparse_complex_numIdEEEviiiiPKT0_S5_S5_S5_PS3_S6_S6_S6_
	.p2align	8
	.type	_ZN9rocsparseL44gtsv_nopivot_strided_batch_pcr_stage1_kernelILj256E21rocsparse_complex_numIdEEEviiiiPKT0_S5_S5_S5_PS3_S6_S6_S6_,@function
_ZN9rocsparseL44gtsv_nopivot_strided_batch_pcr_stage1_kernelILj256E21rocsparse_complex_numIdEEEviiiiPKT0_S5_S5_S5_PS3_S6_S6_S6_: ; @_ZN9rocsparseL44gtsv_nopivot_strided_batch_pcr_stage1_kernelILj256E21rocsparse_complex_numIdEEEviiiiPKT0_S5_S5_S5_PS3_S6_S6_S6_
; %bb.0:
	s_load_dwordx2 s[0:1], s[4:5], 0x0
	v_lshl_or_b32 v4, s6, 8, v0
	s_waitcnt lgkmcnt(0)
	v_cmp_gt_i32_e32 vcc, s1, v4
	s_and_saveexec_b64 s[2:3], vcc
	s_cbranch_execz .LBB82_2
; %bb.1:
	s_load_dword s3, s[4:5], 0xc
	s_load_dwordx8 s[8:15], s[4:5], 0x30
	s_load_dwordx8 s[16:23], s[4:5], 0x10
	s_mul_i32 s2, s7, s1
	v_subrev_u32_e32 v0, s0, v4
	s_waitcnt lgkmcnt(0)
	s_mul_i32 s4, s7, s3
	s_ashr_i32 s5, s4, 31
	s_lshl_b64 s[6:7], s[4:5], 4
	s_add_u32 s16, s16, s6
	s_addc_u32 s17, s17, s7
	s_ashr_i32 s3, s2, 31
	s_lshl_b64 s[24:25], s[2:3], 4
	s_add_u32 s2, s8, s24
	s_addc_u32 s3, s9, s25
	s_add_u32 s18, s18, s6
	v_max_i32_e32 v0, 0, v0
	v_mov_b32_e32 v1, 0
	s_addc_u32 s19, s19, s7
	v_lshlrev_b64 v[14:15], 4, v[0:1]
	v_mov_b32_e32 v1, s19
	v_add_co_u32_e32 v0, vcc, s18, v14
	v_addc_co_u32_e32 v1, vcc, v1, v15, vcc
	global_load_dwordx4 v[0:3], v[0:1], off
	s_add_u32 s8, s10, s24
	s_addc_u32 s9, s11, s25
	s_add_u32 s10, s20, s6
	s_addc_u32 s11, s21, s7
	;; [unrolled: 2-line block ×5, first 2 shown]
	v_add_u32_e32 v5, s0, v4
	s_add_i32 s0, s1, -1
	v_mov_b32_e32 v6, s0
	v_cmp_gt_i32_e32 vcc, s1, v5
	v_cndmask_b32_e32 v8, v6, v5, vcc
	v_ashrrev_i32_e32 v5, 31, v4
	v_lshlrev_b64 v[12:13], 4, v[4:5]
	v_mov_b32_e32 v5, s17
	v_add_co_u32_e32 v4, vcc, s16, v12
	v_ashrrev_i32_e32 v9, 31, v8
	v_addc_co_u32_e32 v5, vcc, v5, v13, vcc
	v_lshlrev_b64 v[48:49], 4, v[8:9]
	v_mov_b32_e32 v9, s19
	v_add_co_u32_e32 v8, vcc, s18, v48
	global_load_dwordx4 v[4:7], v[4:5], off
	v_addc_co_u32_e32 v9, vcc, v9, v49, vcc
	global_load_dwordx4 v[8:11], v[8:9], off
	v_mov_b32_e32 v17, s19
	v_add_co_u32_e32 v16, vcc, s18, v12
	v_addc_co_u32_e32 v17, vcc, v17, v13, vcc
	global_load_dwordx4 v[16:19], v[16:17], off
	v_mov_b32_e32 v21, s11
	v_add_co_u32_e32 v20, vcc, s10, v12
	;; [unrolled: 4-line block ×4, first 2 shown]
	v_addc_co_u32_e32 v29, vcc, v29, v49, vcc
	v_mov_b32_e32 v33, s13
	global_load_dwordx4 v[28:31], v[28:29], off
	v_add_co_u32_e32 v40, vcc, s12, v14
	v_addc_co_u32_e32 v41, vcc, v33, v15, vcc
	v_mov_b32_e32 v32, s13
	v_add_co_u32_e32 v42, vcc, s12, v48
	v_addc_co_u32_e32 v43, vcc, v32, v49, vcc
	v_mov_b32_e32 v44, s13
	global_load_dwordx4 v[32:35], v[42:43], off
	global_load_dwordx4 v[36:39], v[40:41], off
	v_add_co_u32_e32 v40, vcc, s12, v12
	v_addc_co_u32_e32 v41, vcc, v44, v13, vcc
	global_load_dwordx4 v[40:43], v[40:41], off
	v_mov_b32_e32 v46, s17
	v_add_co_u32_e32 v14, vcc, s16, v14
	v_addc_co_u32_e32 v15, vcc, v46, v15, vcc
	v_mov_b32_e32 v50, s11
	s_waitcnt vmcnt(9)
	v_mul_f64 v[52:53], v[2:3], v[2:3]
	v_fmac_f64_e32 v[52:53], v[0:1], v[0:1]
	v_div_scale_f64 v[54:55], s[0:1], v[52:53], v[52:53], 1.0
	v_rcp_f64_e32 v[56:57], v[54:55]
	v_add_co_u32_e64 v48, s[0:1], s10, v48
	v_addc_co_u32_e64 v49, s[0:1], v50, v49, s[0:1]
	v_fma_f64 v[44:45], -v[54:55], v[56:57], 1.0
	v_fmac_f64_e32 v[56:57], v[56:57], v[44:45]
	global_load_dwordx4 v[44:47], v[14:15], off
	v_fma_f64 v[14:15], -v[54:55], v[56:57], 1.0
	global_load_dwordx4 v[48:51], v[48:49], off
	v_fmac_f64_e32 v[56:57], v[56:57], v[14:15]
	v_div_scale_f64 v[14:15], vcc, 1.0, v[52:53], 1.0
	v_mul_f64 v[58:59], v[14:15], v[56:57]
	v_fma_f64 v[14:15], -v[54:55], v[58:59], v[14:15]
	s_waitcnt vmcnt(10)
	v_mul_f64 v[54:55], v[2:3], v[6:7]
	v_mul_f64 v[2:3], v[2:3], -v[4:5]
	v_fmac_f64_e32 v[54:55], v[4:5], v[0:1]
	v_fmac_f64_e32 v[2:3], v[6:7], v[0:1]
	s_waitcnt vmcnt(9)
	v_mul_f64 v[0:1], v[10:11], v[10:11]
	v_fmac_f64_e32 v[0:1], v[8:9], v[8:9]
	v_div_scale_f64 v[4:5], s[0:1], v[0:1], v[0:1], 1.0
	v_rcp_f64_e32 v[6:7], v[4:5]
	v_div_fmas_f64 v[14:15], v[14:15], v[56:57], v[58:59]
	v_div_fixup_f64 v[14:15], v[14:15], v[52:53], 1.0
	v_mul_f64 v[52:53], v[14:15], v[54:55]
	v_mul_f64 v[14:15], v[14:15], v[2:3]
	v_fma_f64 v[2:3], -v[4:5], v[6:7], 1.0
	v_fmac_f64_e32 v[6:7], v[6:7], v[2:3]
	v_fma_f64 v[2:3], -v[4:5], v[6:7], 1.0
	v_fmac_f64_e32 v[6:7], v[6:7], v[2:3]
	v_div_scale_f64 v[2:3], vcc, 1.0, v[0:1], 1.0
	v_mul_f64 v[54:55], v[2:3], v[6:7]
	v_fma_f64 v[2:3], -v[4:5], v[54:55], v[2:3]
	s_nop 1
	v_div_fmas_f64 v[2:3], v[2:3], v[6:7], v[54:55]
	v_div_fixup_f64 v[0:1], v[2:3], v[0:1], 1.0
	s_waitcnt vmcnt(7)
	v_mul_f64 v[2:3], v[10:11], v[22:23]
	v_fmac_f64_e32 v[2:3], v[20:21], v[8:9]
	v_mul_f64 v[4:5], v[0:1], v[2:3]
	v_mul_f64 v[2:3], v[10:11], -v[20:21]
	v_fmac_f64_e32 v[2:3], v[22:23], v[8:9]
	v_mul_f64 v[6:7], v[0:1], v[2:3]
	s_waitcnt vmcnt(6)
	v_mul_f64 v[0:1], v[14:15], -v[26:27]
	v_fmac_f64_e32 v[0:1], v[24:25], v[52:53]
	v_mul_f64 v[2:3], v[14:15], v[24:25]
	s_waitcnt vmcnt(5)
	v_mul_f64 v[8:9], v[6:7], -v[30:31]
	v_fmac_f64_e32 v[2:3], v[26:27], v[52:53]
	v_add_f64 v[0:1], v[16:17], -v[0:1]
	v_fmac_f64_e32 v[8:9], v[28:29], v[4:5]
	v_mul_f64 v[10:11], v[6:7], v[28:29]
	v_add_f64 v[2:3], v[18:19], -v[2:3]
	v_fmac_f64_e32 v[10:11], v[30:31], v[4:5]
	v_add_f64 v[0:1], v[0:1], -v[8:9]
	v_mov_b32_e32 v9, s9
	v_add_co_u32_e32 v8, vcc, s8, v12
	v_add_f64 v[2:3], v[2:3], -v[10:11]
	v_addc_co_u32_e32 v9, vcc, v9, v13, vcc
	global_store_dwordx4 v[8:9], v[0:3], off
	s_waitcnt vmcnt(5)
	v_mul_f64 v[8:9], v[6:7], -v[34:35]
	s_waitcnt vmcnt(4)
	v_mul_f64 v[0:1], v[14:15], -v[38:39]
	v_fmac_f64_e32 v[0:1], v[36:37], v[52:53]
	v_mul_f64 v[2:3], v[14:15], v[36:37]
	v_fmac_f64_e32 v[2:3], v[38:39], v[52:53]
	s_waitcnt vmcnt(3)
	v_add_f64 v[0:1], v[40:41], -v[0:1]
	v_fmac_f64_e32 v[8:9], v[32:33], v[4:5]
	v_mul_f64 v[10:11], v[32:33], v[6:7]
	v_add_f64 v[2:3], v[42:43], -v[2:3]
	v_fmac_f64_e32 v[10:11], v[34:35], v[4:5]
	v_add_f64 v[0:1], v[0:1], -v[8:9]
	v_mov_b32_e32 v9, s7
	v_add_co_u32_e32 v8, vcc, s6, v12
	v_add_f64 v[2:3], v[2:3], -v[10:11]
	v_addc_co_u32_e32 v9, vcc, v9, v13, vcc
	global_store_dwordx4 v[8:9], v[0:3], off
	v_mov_b32_e32 v9, s3
	s_waitcnt vmcnt(3)
	v_mul_f64 v[0:1], v[14:15], v[46:47]
	v_mul_f64 v[2:3], v[14:15], -v[44:45]
	v_add_co_u32_e32 v8, vcc, s2, v12
	v_fma_f64 v[0:1], -v[44:45], v[52:53], v[0:1]
	v_fma_f64 v[2:3], -v[46:47], v[52:53], v[2:3]
	v_addc_co_u32_e32 v9, vcc, v9, v13, vcc
	global_store_dwordx4 v[8:9], v[0:3], off
	s_waitcnt vmcnt(3)
	v_mul_f64 v[0:1], v[6:7], v[50:51]
	v_mul_f64 v[2:3], v[6:7], -v[48:49]
	v_fma_f64 v[0:1], -v[48:49], v[4:5], v[0:1]
	v_fma_f64 v[2:3], -v[50:51], v[4:5], v[2:3]
	v_mov_b32_e32 v5, s5
	v_add_co_u32_e32 v4, vcc, s4, v12
	v_addc_co_u32_e32 v5, vcc, v5, v13, vcc
	global_store_dwordx4 v[4:5], v[0:3], off
.LBB82_2:
	s_endpgm
	.section	.rodata,"a",@progbits
	.p2align	6, 0x0
	.amdhsa_kernel _ZN9rocsparseL44gtsv_nopivot_strided_batch_pcr_stage1_kernelILj256E21rocsparse_complex_numIdEEEviiiiPKT0_S5_S5_S5_PS3_S6_S6_S6_
		.amdhsa_group_segment_fixed_size 0
		.amdhsa_private_segment_fixed_size 0
		.amdhsa_kernarg_size 80
		.amdhsa_user_sgpr_count 6
		.amdhsa_user_sgpr_private_segment_buffer 1
		.amdhsa_user_sgpr_dispatch_ptr 0
		.amdhsa_user_sgpr_queue_ptr 0
		.amdhsa_user_sgpr_kernarg_segment_ptr 1
		.amdhsa_user_sgpr_dispatch_id 0
		.amdhsa_user_sgpr_flat_scratch_init 0
		.amdhsa_user_sgpr_kernarg_preload_length 0
		.amdhsa_user_sgpr_kernarg_preload_offset 0
		.amdhsa_user_sgpr_private_segment_size 0
		.amdhsa_uses_dynamic_stack 0
		.amdhsa_system_sgpr_private_segment_wavefront_offset 0
		.amdhsa_system_sgpr_workgroup_id_x 1
		.amdhsa_system_sgpr_workgroup_id_y 1
		.amdhsa_system_sgpr_workgroup_id_z 0
		.amdhsa_system_sgpr_workgroup_info 0
		.amdhsa_system_vgpr_workitem_id 0
		.amdhsa_next_free_vgpr 60
		.amdhsa_next_free_sgpr 26
		.amdhsa_accum_offset 60
		.amdhsa_reserve_vcc 1
		.amdhsa_reserve_flat_scratch 0
		.amdhsa_float_round_mode_32 0
		.amdhsa_float_round_mode_16_64 0
		.amdhsa_float_denorm_mode_32 3
		.amdhsa_float_denorm_mode_16_64 3
		.amdhsa_dx10_clamp 1
		.amdhsa_ieee_mode 1
		.amdhsa_fp16_overflow 0
		.amdhsa_tg_split 0
		.amdhsa_exception_fp_ieee_invalid_op 0
		.amdhsa_exception_fp_denorm_src 0
		.amdhsa_exception_fp_ieee_div_zero 0
		.amdhsa_exception_fp_ieee_overflow 0
		.amdhsa_exception_fp_ieee_underflow 0
		.amdhsa_exception_fp_ieee_inexact 0
		.amdhsa_exception_int_div_zero 0
	.end_amdhsa_kernel
	.section	.text._ZN9rocsparseL44gtsv_nopivot_strided_batch_pcr_stage1_kernelILj256E21rocsparse_complex_numIdEEEviiiiPKT0_S5_S5_S5_PS3_S6_S6_S6_,"axG",@progbits,_ZN9rocsparseL44gtsv_nopivot_strided_batch_pcr_stage1_kernelILj256E21rocsparse_complex_numIdEEEviiiiPKT0_S5_S5_S5_PS3_S6_S6_S6_,comdat
.Lfunc_end82:
	.size	_ZN9rocsparseL44gtsv_nopivot_strided_batch_pcr_stage1_kernelILj256E21rocsparse_complex_numIdEEEviiiiPKT0_S5_S5_S5_PS3_S6_S6_S6_, .Lfunc_end82-_ZN9rocsparseL44gtsv_nopivot_strided_batch_pcr_stage1_kernelILj256E21rocsparse_complex_numIdEEEviiiiPKT0_S5_S5_S5_PS3_S6_S6_S6_
                                        ; -- End function
	.section	.AMDGPU.csdata,"",@progbits
; Kernel info:
; codeLenInByte = 1072
; NumSgprs: 30
; NumVgprs: 60
; NumAgprs: 0
; TotalNumVgprs: 60
; ScratchSize: 0
; MemoryBound: 0
; FloatMode: 240
; IeeeMode: 1
; LDSByteSize: 0 bytes/workgroup (compile time only)
; SGPRBlocks: 3
; VGPRBlocks: 7
; NumSGPRsForWavesPerEU: 30
; NumVGPRsForWavesPerEU: 60
; AccumOffset: 60
; Occupancy: 8
; WaveLimiterHint : 0
; COMPUTE_PGM_RSRC2:SCRATCH_EN: 0
; COMPUTE_PGM_RSRC2:USER_SGPR: 6
; COMPUTE_PGM_RSRC2:TRAP_HANDLER: 0
; COMPUTE_PGM_RSRC2:TGID_X_EN: 1
; COMPUTE_PGM_RSRC2:TGID_Y_EN: 1
; COMPUTE_PGM_RSRC2:TGID_Z_EN: 0
; COMPUTE_PGM_RSRC2:TIDIG_COMP_CNT: 0
; COMPUTE_PGM_RSRC3_GFX90A:ACCUM_OFFSET: 14
; COMPUTE_PGM_RSRC3_GFX90A:TG_SPLIT: 0
	.section	.text._ZN9rocsparseL44gtsv_nopivot_strided_batch_pcr_stage2_kernelILj512E21rocsparse_complex_numIdEEEviiiPKT0_S5_S5_S5_PS3_,"axG",@progbits,_ZN9rocsparseL44gtsv_nopivot_strided_batch_pcr_stage2_kernelILj512E21rocsparse_complex_numIdEEEviiiPKT0_S5_S5_S5_PS3_,comdat
	.globl	_ZN9rocsparseL44gtsv_nopivot_strided_batch_pcr_stage2_kernelILj512E21rocsparse_complex_numIdEEEviiiPKT0_S5_S5_S5_PS3_ ; -- Begin function _ZN9rocsparseL44gtsv_nopivot_strided_batch_pcr_stage2_kernelILj512E21rocsparse_complex_numIdEEEviiiPKT0_S5_S5_S5_PS3_
	.p2align	8
	.type	_ZN9rocsparseL44gtsv_nopivot_strided_batch_pcr_stage2_kernelILj512E21rocsparse_complex_numIdEEEviiiPKT0_S5_S5_S5_PS3_,@function
_ZN9rocsparseL44gtsv_nopivot_strided_batch_pcr_stage2_kernelILj512E21rocsparse_complex_numIdEEEviiiPKT0_S5_S5_S5_PS3_: ; @_ZN9rocsparseL44gtsv_nopivot_strided_batch_pcr_stage2_kernelILj512E21rocsparse_complex_numIdEEEviiiPKT0_S5_S5_S5_PS3_
; %bb.0:
	s_load_dword s0, s[4:5], 0x38
	s_load_dword s1, s[4:5], 0x0
	s_load_dwordx8 s[8:15], s[4:5], 0x10
	s_waitcnt lgkmcnt(0)
	v_mul_lo_u32 v1, s0, v0
	s_mul_i32 s2, s7, s1
	s_add_i32 s3, s6, s1
	s_add_i32 s3, s3, s2
	v_add_u32_e32 v1, s6, v1
	s_sub_i32 s0, s3, s0
	v_add_u32_e32 v2, s2, v1
	v_mov_b32_e32 v3, s0
	v_cmp_gt_i32_e64 s[0:1], s1, v1
	v_cndmask_b32_e64 v2, v3, v2, s[0:1]
	v_mov_b32_e32 v3, 0
	v_lshlrev_b64 v[6:7], 4, v[2:3]
	v_mov_b32_e32 v3, s9
	v_add_co_u32_e32 v2, vcc, s8, v6
	v_addc_co_u32_e32 v3, vcc, v3, v7, vcc
	v_mov_b32_e32 v9, s11
	v_add_co_u32_e32 v8, vcc, s10, v6
	v_addc_co_u32_e32 v9, vcc, v9, v7, vcc
	global_load_dwordx4 v[10:13], v[8:9], off
	v_mov_b32_e32 v9, s13
	v_add_co_u32_e32 v8, vcc, s12, v6
	global_load_dwordx4 v[2:5], v[2:3], off
	v_addc_co_u32_e32 v9, vcc, v9, v7, vcc
	global_load_dwordx4 v[14:17], v[8:9], off
	v_mov_b32_e32 v8, s15
	v_add_co_u32_e32 v6, vcc, s14, v6
	v_addc_co_u32_e32 v7, vcc, v8, v7, vcc
	global_load_dwordx4 v[18:21], v[6:7], off
	s_load_dwordx2 s[8:9], s[4:5], 0x30
	v_lshlrev_b32_e32 v6, 4, v0
	s_mov_b32 s6, 1
	v_or_b32_e32 v9, 0x2000, v6
	v_or_b32_e32 v8, 0x4000, v6
	;; [unrolled: 1-line block ×3, first 2 shown]
	s_mov_b32 s10, 8
	s_waitcnt vmcnt(2)
	ds_write2_b64 v6, v[2:3], v[4:5] offset1:1
	ds_write2_b64 v9, v[10:11], v[12:13] offset1:1
	s_waitcnt vmcnt(1)
	ds_write2_b64 v8, v[14:15], v[16:17] offset1:1
	s_waitcnt vmcnt(0)
	ds_write2_b64 v7, v[18:19], v[20:21] offset1:1
	s_waitcnt lgkmcnt(0)
	s_barrier
.LBB83_1:                               ; =>This Inner Loop Header: Depth=1
	v_add_u32_e32 v22, s6, v0
	v_subrev_u32_e32 v23, s6, v0
	v_min_u32_e32 v22, 0x1ff, v22
	v_max_i32_e32 v23, 0, v23
	v_lshlrev_b32_e32 v42, 4, v23
	v_lshlrev_b32_e32 v50, 4, v22
	ds_read_b128 v[2:5], v6
	ds_read_b128 v[10:13], v9
	;; [unrolled: 1-line block ×4, first 2 shown]
	ds_read_b128 v[22:25], v42 offset:8192
	ds_read_b128 v[26:29], v42 offset:16384
	ds_read_b128 v[30:33], v50
	ds_read_b128 v[34:37], v50 offset:32768
	ds_read_b128 v[38:41], v42 offset:32768
	ds_read_b128 v[42:45], v42
	ds_read_b128 v[46:49], v50 offset:8192
	ds_read_b128 v[50:53], v50 offset:16384
	s_waitcnt lgkmcnt(7)
	v_mul_f64 v[54:55], v[24:25], v[24:25]
	v_mul_f64 v[56:57], v[24:25], v[4:5]
	v_fmac_f64_e32 v[54:55], v[22:23], v[22:23]
	s_waitcnt lgkmcnt(1)
	v_mul_f64 v[58:59], v[48:49], v[48:49]
	v_mul_f64 v[24:25], v[24:25], -v[2:3]
	v_mul_f64 v[60:61], v[48:49], v[16:17]
	v_fmac_f64_e32 v[56:57], v[2:3], v[22:23]
	v_fmac_f64_e32 v[58:59], v[46:47], v[46:47]
	v_div_scale_f64 v[2:3], s[2:3], v[54:55], v[54:55], 1.0
	v_mul_f64 v[48:49], v[48:49], -v[14:15]
	v_fmac_f64_e32 v[24:25], v[4:5], v[22:23]
	v_fmac_f64_e32 v[60:61], v[14:15], v[46:47]
	v_div_scale_f64 v[14:15], s[2:3], v[58:59], v[58:59], 1.0
	v_rcp_f64_e32 v[22:23], v[2:3]
	v_fmac_f64_e32 v[48:49], v[16:17], v[46:47]
	v_rcp_f64_e32 v[46:47], v[14:15]
	v_div_scale_f64 v[4:5], vcc, 1.0, v[54:55], 1.0
	v_fma_f64 v[62:63], -v[2:3], v[22:23], 1.0
	v_fma_f64 v[64:65], -v[14:15], v[46:47], 1.0
	v_fmac_f64_e32 v[22:23], v[22:23], v[62:63]
	v_fmac_f64_e32 v[46:47], v[46:47], v[64:65]
	v_fma_f64 v[62:63], -v[2:3], v[22:23], 1.0
	v_fma_f64 v[64:65], -v[14:15], v[46:47], 1.0
	v_fmac_f64_e32 v[22:23], v[22:23], v[62:63]
	v_div_scale_f64 v[16:17], s[2:3], 1.0, v[58:59], 1.0
	v_fmac_f64_e32 v[46:47], v[46:47], v[64:65]
	v_mul_f64 v[62:63], v[4:5], v[22:23]
	v_mul_f64 v[64:65], v[16:17], v[46:47]
	v_fma_f64 v[2:3], -v[2:3], v[62:63], v[4:5]
	v_fma_f64 v[4:5], -v[14:15], v[64:65], v[16:17]
	v_div_fmas_f64 v[2:3], v[2:3], v[22:23], v[62:63]
	s_mov_b64 vcc, s[2:3]
	v_div_fixup_f64 v[2:3], v[2:3], v[54:55], 1.0
	v_div_fmas_f64 v[4:5], v[4:5], v[46:47], v[64:65]
	v_mul_f64 v[14:15], v[2:3], v[56:57]
	v_mul_f64 v[2:3], v[2:3], v[24:25]
	v_div_fixup_f64 v[4:5], v[4:5], v[58:59], 1.0
	v_mul_f64 v[16:17], v[4:5], v[60:61]
	v_mul_f64 v[22:23], v[4:5], v[48:49]
	v_mul_f64 v[24:25], v[2:3], -v[28:29]
	v_mul_f64 v[46:47], v[2:3], v[26:27]
	v_mul_f64 v[48:49], v[2:3], -v[40:41]
	v_mul_f64 v[54:55], v[2:3], v[38:39]
	v_mul_f64 v[4:5], v[2:3], v[44:45]
	v_mul_f64 v[56:57], v[2:3], -v[42:43]
	s_lshl_b32 s6, s6, 1
	s_add_i32 s10, s10, -1
	v_fmac_f64_e32 v[24:25], v[26:27], v[14:15]
	v_fmac_f64_e32 v[46:47], v[28:29], v[14:15]
	v_mul_f64 v[26:27], v[22:23], -v[32:33]
	v_mul_f64 v[28:29], v[22:23], v[30:31]
	v_fmac_f64_e32 v[48:49], v[38:39], v[14:15]
	v_fmac_f64_e32 v[54:55], v[40:41], v[14:15]
	v_mul_f64 v[38:39], v[22:23], -v[36:37]
	v_mul_f64 v[40:41], v[22:23], v[34:35]
	v_fma_f64 v[2:3], -v[42:43], v[14:15], v[4:5]
	v_fma_f64 v[4:5], -v[44:45], v[14:15], v[56:57]
	s_waitcnt lgkmcnt(0)
	v_mul_f64 v[14:15], v[22:23], v[52:53]
	v_mul_f64 v[22:23], v[22:23], -v[50:51]
	s_cmp_eq_u32 s10, 0
	v_add_f64 v[24:25], v[10:11], -v[24:25]
	v_add_f64 v[42:43], v[12:13], -v[46:47]
	v_fmac_f64_e32 v[26:27], v[30:31], v[16:17]
	v_fmac_f64_e32 v[28:29], v[32:33], v[16:17]
	v_add_f64 v[18:19], v[18:19], -v[48:49]
	v_add_f64 v[20:21], v[20:21], -v[54:55]
	v_fmac_f64_e32 v[38:39], v[34:35], v[16:17]
	v_fmac_f64_e32 v[40:41], v[36:37], v[16:17]
	v_fma_f64 v[10:11], -v[50:51], v[16:17], v[14:15]
	v_fma_f64 v[12:13], -v[52:53], v[16:17], v[22:23]
	s_barrier
	ds_write_b128 v6, v[2:5]
	v_add_f64 v[2:3], v[24:25], -v[26:27]
	v_add_f64 v[4:5], v[42:43], -v[28:29]
	;; [unrolled: 1-line block ×4, first 2 shown]
	ds_write_b128 v8, v[10:13]
	ds_write_b128 v9, v[2:5]
	;; [unrolled: 1-line block ×3, first 2 shown]
	s_waitcnt lgkmcnt(0)
	s_barrier
	s_cbranch_scc0 .LBB83_1
; %bb.2:
	s_movk_i32 s2, 0x100
	v_cmp_gt_u32_e32 vcc, s2, v0
	s_and_saveexec_b64 s[2:3], vcc
	s_cbranch_execz .LBB83_4
; %bb.3:
	ds_read_b128 v[2:5], v9 offset:4096
	ds_read_b128 v[10:13], v9
	ds_read_b128 v[14:17], v6 offset:4096
	ds_read_b128 v[18:21], v8
	s_waitcnt lgkmcnt(2)
	v_mul_f64 v[22:23], v[12:13], v[2:3]
	v_mul_f64 v[8:9], v[12:13], -v[4:5]
	s_waitcnt lgkmcnt(0)
	v_mul_f64 v[26:27], v[16:17], v[18:19]
	v_fmac_f64_e32 v[22:23], v[4:5], v[10:11]
	v_mul_f64 v[24:25], v[16:17], -v[20:21]
	v_fmac_f64_e32 v[26:27], v[20:21], v[14:15]
	v_fmac_f64_e32 v[8:9], v[2:3], v[10:11]
	;; [unrolled: 1-line block ×3, first 2 shown]
	v_add_f64 v[26:27], v[22:23], -v[26:27]
	v_add_f64 v[8:9], v[8:9], -v[24:25]
	v_mul_f64 v[22:23], v[26:27], v[26:27]
	v_fmac_f64_e32 v[22:23], v[8:9], v[8:9]
	v_div_scale_f64 v[24:25], s[10:11], v[22:23], v[22:23], 1.0
	v_rcp_f64_e32 v[28:29], v[24:25]
	v_fma_f64 v[30:31], -v[24:25], v[28:29], 1.0
	v_fmac_f64_e32 v[28:29], v[28:29], v[30:31]
	v_fma_f64 v[30:31], -v[24:25], v[28:29], 1.0
	v_fmac_f64_e32 v[28:29], v[28:29], v[30:31]
	v_div_scale_f64 v[30:31], vcc, 1.0, v[22:23], 1.0
	v_mul_f64 v[32:33], v[30:31], v[28:29]
	v_fma_f64 v[24:25], -v[24:25], v[32:33], v[30:31]
	v_fma_f64 v[30:31], 0, v[26:27], v[8:9]
	s_nop 0
	v_div_fmas_f64 v[24:25], v[24:25], v[28:29], v[32:33]
	v_div_fixup_f64 v[28:29], v[24:25], v[22:23], 1.0
	ds_read_b128 v[22:25], v7
	v_fma_f64 v[8:9], v[8:9], 0, -v[26:27]
	v_mul_f64 v[30:31], v[30:31], v[28:29]
	v_mul_f64 v[8:9], v[8:9], v[28:29]
	ds_read_b128 v[26:29], v7 offset:4096
	s_waitcnt lgkmcnt(1)
	v_mul_f64 v[32:33], v[24:25], -v[4:5]
	v_fmac_f64_e32 v[32:33], v[2:3], v[22:23]
	v_mul_f64 v[2:3], v[2:3], v[24:25]
	v_fmac_f64_e32 v[2:3], v[4:5], v[22:23]
	s_waitcnt lgkmcnt(0)
	v_mul_f64 v[4:5], v[28:29], -v[20:21]
	v_fmac_f64_e32 v[4:5], v[18:19], v[26:27]
	v_mul_f64 v[18:19], v[18:19], v[28:29]
	v_fmac_f64_e32 v[18:19], v[20:21], v[26:27]
	v_add_f64 v[18:19], v[2:3], -v[18:19]
	v_add_f64 v[4:5], v[32:33], -v[4:5]
	v_mul_f64 v[2:3], v[8:9], -v[18:19]
	v_fmac_f64_e32 v[2:3], v[4:5], v[30:31]
	v_mul_f64 v[4:5], v[8:9], v[4:5]
	v_fmac_f64_e32 v[4:5], v[18:19], v[30:31]
	ds_write_b128 v6, v[2:5] offset:24576
	v_mul_f64 v[2:3], v[12:13], -v[28:29]
	v_mul_f64 v[4:5], v[12:13], v[26:27]
	v_fmac_f64_e32 v[2:3], v[26:27], v[10:11]
	v_fmac_f64_e32 v[4:5], v[28:29], v[10:11]
	v_mul_f64 v[10:11], v[16:17], -v[24:25]
	v_mul_f64 v[12:13], v[16:17], v[22:23]
	v_fmac_f64_e32 v[10:11], v[22:23], v[14:15]
	v_fmac_f64_e32 v[12:13], v[24:25], v[14:15]
	v_add_f64 v[10:11], v[2:3], -v[10:11]
	v_add_f64 v[12:13], v[4:5], -v[12:13]
	v_mul_f64 v[2:3], v[8:9], -v[12:13]
	v_mul_f64 v[4:5], v[8:9], v[10:11]
	v_fmac_f64_e32 v[2:3], v[10:11], v[30:31]
	v_fmac_f64_e32 v[4:5], v[12:13], v[30:31]
	ds_write_b128 v6, v[2:5] offset:28672
.LBB83_4:
	s_or_b64 exec, exec, s[2:3]
	s_waitcnt lgkmcnt(0)
	s_barrier
	s_and_saveexec_b64 s[2:3], s[0:1]
	s_cbranch_execz .LBB83_6
; %bb.5:
	s_load_dword s0, s[4:5], 0x8
	v_mov_b32_e32 v2, 0x6000
	v_mov_b32_e32 v3, 0
	v_lshl_or_b32 v0, v0, 4, v2
	v_mov_b32_e32 v6, s9
	s_waitcnt lgkmcnt(0)
	s_mul_i32 s7, s7, s0
	v_add_u32_e32 v2, s7, v1
	v_lshlrev_b64 v[4:5], 4, v[2:3]
	ds_read2_b64 v[0:3], v0 offset1:1
	v_add_co_u32_e32 v4, vcc, s8, v4
	v_addc_co_u32_e32 v5, vcc, v6, v5, vcc
	s_waitcnt lgkmcnt(0)
	global_store_dwordx4 v[4:5], v[0:3], off
.LBB83_6:
	s_endpgm
	.section	.rodata,"a",@progbits
	.p2align	6, 0x0
	.amdhsa_kernel _ZN9rocsparseL44gtsv_nopivot_strided_batch_pcr_stage2_kernelILj512E21rocsparse_complex_numIdEEEviiiPKT0_S5_S5_S5_PS3_
		.amdhsa_group_segment_fixed_size 40960
		.amdhsa_private_segment_fixed_size 0
		.amdhsa_kernarg_size 312
		.amdhsa_user_sgpr_count 6
		.amdhsa_user_sgpr_private_segment_buffer 1
		.amdhsa_user_sgpr_dispatch_ptr 0
		.amdhsa_user_sgpr_queue_ptr 0
		.amdhsa_user_sgpr_kernarg_segment_ptr 1
		.amdhsa_user_sgpr_dispatch_id 0
		.amdhsa_user_sgpr_flat_scratch_init 0
		.amdhsa_user_sgpr_kernarg_preload_length 0
		.amdhsa_user_sgpr_kernarg_preload_offset 0
		.amdhsa_user_sgpr_private_segment_size 0
		.amdhsa_uses_dynamic_stack 0
		.amdhsa_system_sgpr_private_segment_wavefront_offset 0
		.amdhsa_system_sgpr_workgroup_id_x 1
		.amdhsa_system_sgpr_workgroup_id_y 1
		.amdhsa_system_sgpr_workgroup_id_z 0
		.amdhsa_system_sgpr_workgroup_info 0
		.amdhsa_system_vgpr_workitem_id 0
		.amdhsa_next_free_vgpr 66
		.amdhsa_next_free_sgpr 16
		.amdhsa_accum_offset 68
		.amdhsa_reserve_vcc 1
		.amdhsa_reserve_flat_scratch 0
		.amdhsa_float_round_mode_32 0
		.amdhsa_float_round_mode_16_64 0
		.amdhsa_float_denorm_mode_32 3
		.amdhsa_float_denorm_mode_16_64 3
		.amdhsa_dx10_clamp 1
		.amdhsa_ieee_mode 1
		.amdhsa_fp16_overflow 0
		.amdhsa_tg_split 0
		.amdhsa_exception_fp_ieee_invalid_op 0
		.amdhsa_exception_fp_denorm_src 0
		.amdhsa_exception_fp_ieee_div_zero 0
		.amdhsa_exception_fp_ieee_overflow 0
		.amdhsa_exception_fp_ieee_underflow 0
		.amdhsa_exception_fp_ieee_inexact 0
		.amdhsa_exception_int_div_zero 0
	.end_amdhsa_kernel
	.section	.text._ZN9rocsparseL44gtsv_nopivot_strided_batch_pcr_stage2_kernelILj512E21rocsparse_complex_numIdEEEviiiPKT0_S5_S5_S5_PS3_,"axG",@progbits,_ZN9rocsparseL44gtsv_nopivot_strided_batch_pcr_stage2_kernelILj512E21rocsparse_complex_numIdEEEviiiPKT0_S5_S5_S5_PS3_,comdat
.Lfunc_end83:
	.size	_ZN9rocsparseL44gtsv_nopivot_strided_batch_pcr_stage2_kernelILj512E21rocsparse_complex_numIdEEEviiiPKT0_S5_S5_S5_PS3_, .Lfunc_end83-_ZN9rocsparseL44gtsv_nopivot_strided_batch_pcr_stage2_kernelILj512E21rocsparse_complex_numIdEEEviiiPKT0_S5_S5_S5_PS3_
                                        ; -- End function
	.section	.AMDGPU.csdata,"",@progbits
; Kernel info:
; codeLenInByte = 1512
; NumSgprs: 20
; NumVgprs: 66
; NumAgprs: 0
; TotalNumVgprs: 66
; ScratchSize: 0
; MemoryBound: 0
; FloatMode: 240
; IeeeMode: 1
; LDSByteSize: 40960 bytes/workgroup (compile time only)
; SGPRBlocks: 2
; VGPRBlocks: 8
; NumSGPRsForWavesPerEU: 20
; NumVGPRsForWavesPerEU: 66
; AccumOffset: 68
; Occupancy: 2
; WaveLimiterHint : 0
; COMPUTE_PGM_RSRC2:SCRATCH_EN: 0
; COMPUTE_PGM_RSRC2:USER_SGPR: 6
; COMPUTE_PGM_RSRC2:TRAP_HANDLER: 0
; COMPUTE_PGM_RSRC2:TGID_X_EN: 1
; COMPUTE_PGM_RSRC2:TGID_Y_EN: 1
; COMPUTE_PGM_RSRC2:TGID_Z_EN: 0
; COMPUTE_PGM_RSRC2:TIDIG_COMP_CNT: 0
; COMPUTE_PGM_RSRC3_GFX90A:ACCUM_OFFSET: 16
; COMPUTE_PGM_RSRC3_GFX90A:TG_SPLIT: 0
	.text
	.p2alignl 6, 3212836864
	.fill 256, 4, 3212836864
	.type	__hip_cuid_2628f94cb26426bf,@object ; @__hip_cuid_2628f94cb26426bf
	.section	.bss,"aw",@nobits
	.globl	__hip_cuid_2628f94cb26426bf
__hip_cuid_2628f94cb26426bf:
	.byte	0                               ; 0x0
	.size	__hip_cuid_2628f94cb26426bf, 1

	.ident	"AMD clang version 19.0.0git (https://github.com/RadeonOpenCompute/llvm-project roc-6.4.0 25133 c7fe45cf4b819c5991fe208aaa96edf142730f1d)"
	.section	".note.GNU-stack","",@progbits
	.addrsig
	.addrsig_sym __hip_cuid_2628f94cb26426bf
	.amdgpu_metadata
---
amdhsa.kernels:
  - .agpr_count:     0
    .args:
      - .offset:         0
        .size:           4
        .value_kind:     by_value
      - .offset:         4
        .size:           4
        .value_kind:     by_value
      - .offset:         8
        .size:           4
        .value_kind:     by_value
      - .actual_access:  read_only
        .address_space:  global
        .offset:         16
        .size:           8
        .value_kind:     global_buffer
      - .actual_access:  read_only
        .address_space:  global
        .offset:         24
        .size:           8
        .value_kind:     global_buffer
      - .actual_access:  read_only
        .address_space:  global
        .offset:         32
        .size:           8
        .value_kind:     global_buffer
      - .address_space:  global
        .offset:         40
        .size:           8
        .value_kind:     global_buffer
    .group_segment_fixed_size: 76
    .kernarg_segment_align: 8
    .kernarg_segment_size: 48
    .language:       OpenCL C
    .language_version:
      - 2
      - 0
    .max_flat_workgroup_size: 2
    .name:           _ZN9rocsparseL49gtsv_nopivot_strided_batch_pcr_pow2_shared_kernelILj2EfEEviiiPKT0_S3_S3_PS1_
    .private_segment_fixed_size: 0
    .sgpr_count:     20
    .sgpr_spill_count: 0
    .symbol:         _ZN9rocsparseL49gtsv_nopivot_strided_batch_pcr_pow2_shared_kernelILj2EfEEviiiPKT0_S3_S3_PS1_.kd
    .uniform_work_group_size: 1
    .uses_dynamic_stack: false
    .vgpr_count:     16
    .vgpr_spill_count: 0
    .wavefront_size: 64
  - .agpr_count:     0
    .args:
      - .offset:         0
        .size:           4
        .value_kind:     by_value
      - .offset:         4
        .size:           4
        .value_kind:     by_value
      - .offset:         8
        .size:           4
        .value_kind:     by_value
      - .actual_access:  read_only
        .address_space:  global
        .offset:         16
        .size:           8
        .value_kind:     global_buffer
      - .actual_access:  read_only
        .address_space:  global
        .offset:         24
        .size:           8
        .value_kind:     global_buffer
      - .actual_access:  read_only
        .address_space:  global
        .offset:         32
        .size:           8
        .value_kind:     global_buffer
      - .address_space:  global
        .offset:         40
        .size:           8
        .value_kind:     global_buffer
    .group_segment_fixed_size: 148
    .kernarg_segment_align: 8
    .kernarg_segment_size: 48
    .language:       OpenCL C
    .language_version:
      - 2
      - 0
    .max_flat_workgroup_size: 4
    .name:           _ZN9rocsparseL49gtsv_nopivot_strided_batch_pcr_pow2_shared_kernelILj4EfEEviiiPKT0_S3_S3_PS1_
    .private_segment_fixed_size: 0
    .sgpr_count:     20
    .sgpr_spill_count: 0
    .symbol:         _ZN9rocsparseL49gtsv_nopivot_strided_batch_pcr_pow2_shared_kernelILj4EfEEviiiPKT0_S3_S3_PS1_.kd
    .uniform_work_group_size: 1
    .uses_dynamic_stack: false
    .vgpr_count:     26
    .vgpr_spill_count: 0
    .wavefront_size: 64
  - .agpr_count:     0
    .args:
      - .offset:         0
        .size:           4
        .value_kind:     by_value
      - .offset:         4
        .size:           4
        .value_kind:     by_value
      - .offset:         8
        .size:           4
        .value_kind:     by_value
      - .actual_access:  read_only
        .address_space:  global
        .offset:         16
        .size:           8
        .value_kind:     global_buffer
      - .actual_access:  read_only
        .address_space:  global
        .offset:         24
        .size:           8
        .value_kind:     global_buffer
      - .actual_access:  read_only
        .address_space:  global
        .offset:         32
        .size:           8
        .value_kind:     global_buffer
      - .address_space:  global
        .offset:         40
        .size:           8
        .value_kind:     global_buffer
    .group_segment_fixed_size: 228
    .kernarg_segment_align: 8
    .kernarg_segment_size: 48
    .language:       OpenCL C
    .language_version:
      - 2
      - 0
    .max_flat_workgroup_size: 8
    .name:           _ZN9rocsparseL49gtsv_nopivot_strided_batch_pcr_pow2_shared_kernelILj8EfEEviiiPKT0_S3_S3_PS1_
    .private_segment_fixed_size: 0
    .sgpr_count:     20
    .sgpr_spill_count: 0
    .symbol:         _ZN9rocsparseL49gtsv_nopivot_strided_batch_pcr_pow2_shared_kernelILj8EfEEviiiPKT0_S3_S3_PS1_.kd
    .uniform_work_group_size: 1
    .uses_dynamic_stack: false
    .vgpr_count:     29
    .vgpr_spill_count: 0
    .wavefront_size: 64
  - .agpr_count:     0
    .args:
      - .offset:         0
        .size:           4
        .value_kind:     by_value
      - .offset:         4
        .size:           4
        .value_kind:     by_value
      - .offset:         8
        .size:           4
        .value_kind:     by_value
      - .actual_access:  read_only
        .address_space:  global
        .offset:         16
        .size:           8
        .value_kind:     global_buffer
      - .actual_access:  read_only
        .address_space:  global
        .offset:         24
        .size:           8
        .value_kind:     global_buffer
      - .actual_access:  read_only
        .address_space:  global
        .offset:         32
        .size:           8
        .value_kind:     global_buffer
      - .address_space:  global
        .offset:         40
        .size:           8
        .value_kind:     global_buffer
    .group_segment_fixed_size: 388
    .kernarg_segment_align: 8
    .kernarg_segment_size: 48
    .language:       OpenCL C
    .language_version:
      - 2
      - 0
    .max_flat_workgroup_size: 16
    .name:           _ZN9rocsparseL49gtsv_nopivot_strided_batch_pcr_pow2_shared_kernelILj16EfEEviiiPKT0_S3_S3_PS1_
    .private_segment_fixed_size: 0
    .sgpr_count:     20
    .sgpr_spill_count: 0
    .symbol:         _ZN9rocsparseL49gtsv_nopivot_strided_batch_pcr_pow2_shared_kernelILj16EfEEviiiPKT0_S3_S3_PS1_.kd
    .uniform_work_group_size: 1
    .uses_dynamic_stack: false
    .vgpr_count:     29
    .vgpr_spill_count: 0
    .wavefront_size: 64
  - .agpr_count:     0
    .args:
      - .offset:         0
        .size:           4
        .value_kind:     by_value
      - .offset:         4
        .size:           4
        .value_kind:     by_value
      - .offset:         8
        .size:           4
        .value_kind:     by_value
      - .actual_access:  read_only
        .address_space:  global
        .offset:         16
        .size:           8
        .value_kind:     global_buffer
      - .actual_access:  read_only
        .address_space:  global
        .offset:         24
        .size:           8
        .value_kind:     global_buffer
      - .actual_access:  read_only
        .address_space:  global
        .offset:         32
        .size:           8
        .value_kind:     global_buffer
      - .address_space:  global
        .offset:         40
        .size:           8
        .value_kind:     global_buffer
    .group_segment_fixed_size: 708
    .kernarg_segment_align: 8
    .kernarg_segment_size: 48
    .language:       OpenCL C
    .language_version:
      - 2
      - 0
    .max_flat_workgroup_size: 32
    .name:           _ZN9rocsparseL49gtsv_nopivot_strided_batch_pcr_pow2_shared_kernelILj32EfEEviiiPKT0_S3_S3_PS1_
    .private_segment_fixed_size: 0
    .sgpr_count:     20
    .sgpr_spill_count: 0
    .symbol:         _ZN9rocsparseL49gtsv_nopivot_strided_batch_pcr_pow2_shared_kernelILj32EfEEviiiPKT0_S3_S3_PS1_.kd
    .uniform_work_group_size: 1
    .uses_dynamic_stack: false
    .vgpr_count:     29
    .vgpr_spill_count: 0
    .wavefront_size: 64
  - .agpr_count:     0
    .args:
      - .offset:         0
        .size:           4
        .value_kind:     by_value
      - .offset:         4
        .size:           4
        .value_kind:     by_value
      - .offset:         8
        .size:           4
        .value_kind:     by_value
      - .actual_access:  read_only
        .address_space:  global
        .offset:         16
        .size:           8
        .value_kind:     global_buffer
      - .actual_access:  read_only
        .address_space:  global
        .offset:         24
        .size:           8
        .value_kind:     global_buffer
      - .actual_access:  read_only
        .address_space:  global
        .offset:         32
        .size:           8
        .value_kind:     global_buffer
      - .address_space:  global
        .offset:         40
        .size:           8
        .value_kind:     global_buffer
    .group_segment_fixed_size: 1348
    .kernarg_segment_align: 8
    .kernarg_segment_size: 48
    .language:       OpenCL C
    .language_version:
      - 2
      - 0
    .max_flat_workgroup_size: 64
    .name:           _ZN9rocsparseL49gtsv_nopivot_strided_batch_pcr_pow2_shared_kernelILj64EfEEviiiPKT0_S3_S3_PS1_
    .private_segment_fixed_size: 0
    .sgpr_count:     20
    .sgpr_spill_count: 0
    .symbol:         _ZN9rocsparseL49gtsv_nopivot_strided_batch_pcr_pow2_shared_kernelILj64EfEEviiiPKT0_S3_S3_PS1_.kd
    .uniform_work_group_size: 1
    .uses_dynamic_stack: false
    .vgpr_count:     30
    .vgpr_spill_count: 0
    .wavefront_size: 64
  - .agpr_count:     0
    .args:
      - .offset:         0
        .size:           4
        .value_kind:     by_value
      - .offset:         4
        .size:           4
        .value_kind:     by_value
      - .offset:         8
        .size:           4
        .value_kind:     by_value
      - .actual_access:  read_only
        .address_space:  global
        .offset:         16
        .size:           8
        .value_kind:     global_buffer
      - .actual_access:  read_only
        .address_space:  global
        .offset:         24
        .size:           8
        .value_kind:     global_buffer
      - .actual_access:  read_only
        .address_space:  global
        .offset:         32
        .size:           8
        .value_kind:     global_buffer
      - .address_space:  global
        .offset:         40
        .size:           8
        .value_kind:     global_buffer
    .group_segment_fixed_size: 3840
    .kernarg_segment_align: 8
    .kernarg_segment_size: 48
    .language:       OpenCL C
    .language_version:
      - 2
      - 0
    .max_flat_workgroup_size: 64
    .name:           _ZN9rocsparseL51gtsv_nopivot_strided_batch_crpcr_pow2_shared_kernelILj64ELj64EfEEviiiPKT1_S3_S3_PS1_
    .private_segment_fixed_size: 0
    .sgpr_count:     20
    .sgpr_spill_count: 0
    .symbol:         _ZN9rocsparseL51gtsv_nopivot_strided_batch_crpcr_pow2_shared_kernelILj64ELj64EfEEviiiPKT1_S3_S3_PS1_.kd
    .uniform_work_group_size: 1
    .uses_dynamic_stack: false
    .vgpr_count:     29
    .vgpr_spill_count: 0
    .wavefront_size: 64
  - .agpr_count:     0
    .args:
      - .offset:         0
        .size:           4
        .value_kind:     by_value
      - .offset:         4
        .size:           4
        .value_kind:     by_value
      - .offset:         8
        .size:           4
        .value_kind:     by_value
      - .actual_access:  read_only
        .address_space:  global
        .offset:         16
        .size:           8
        .value_kind:     global_buffer
      - .actual_access:  read_only
        .address_space:  global
        .offset:         24
        .size:           8
        .value_kind:     global_buffer
      - .actual_access:  read_only
        .address_space:  global
        .offset:         32
        .size:           8
        .value_kind:     global_buffer
      - .address_space:  global
        .offset:         40
        .size:           8
        .value_kind:     global_buffer
    .group_segment_fixed_size: 6400
    .kernarg_segment_align: 8
    .kernarg_segment_size: 48
    .language:       OpenCL C
    .language_version:
      - 2
      - 0
    .max_flat_workgroup_size: 128
    .name:           _ZN9rocsparseL51gtsv_nopivot_strided_batch_crpcr_pow2_shared_kernelILj128ELj64EfEEviiiPKT1_S3_S3_PS1_
    .private_segment_fixed_size: 0
    .sgpr_count:     20
    .sgpr_spill_count: 0
    .symbol:         _ZN9rocsparseL51gtsv_nopivot_strided_batch_crpcr_pow2_shared_kernelILj128ELj64EfEEviiiPKT1_S3_S3_PS1_.kd
    .uniform_work_group_size: 1
    .uses_dynamic_stack: false
    .vgpr_count:     29
    .vgpr_spill_count: 0
    .wavefront_size: 64
  - .agpr_count:     0
    .args:
      - .offset:         0
        .size:           4
        .value_kind:     by_value
      - .offset:         4
        .size:           4
        .value_kind:     by_value
      - .offset:         8
        .size:           4
        .value_kind:     by_value
      - .actual_access:  read_only
        .address_space:  global
        .offset:         16
        .size:           8
        .value_kind:     global_buffer
      - .actual_access:  read_only
        .address_space:  global
        .offset:         24
        .size:           8
        .value_kind:     global_buffer
      - .actual_access:  read_only
        .address_space:  global
        .offset:         32
        .size:           8
        .value_kind:     global_buffer
      - .address_space:  global
        .offset:         40
        .size:           8
        .value_kind:     global_buffer
    .group_segment_fixed_size: 11520
    .kernarg_segment_align: 8
    .kernarg_segment_size: 48
    .language:       OpenCL C
    .language_version:
      - 2
      - 0
    .max_flat_workgroup_size: 256
    .name:           _ZN9rocsparseL51gtsv_nopivot_strided_batch_crpcr_pow2_shared_kernelILj256ELj64EfEEviiiPKT1_S3_S3_PS1_
    .private_segment_fixed_size: 0
    .sgpr_count:     20
    .sgpr_spill_count: 0
    .symbol:         _ZN9rocsparseL51gtsv_nopivot_strided_batch_crpcr_pow2_shared_kernelILj256ELj64EfEEviiiPKT1_S3_S3_PS1_.kd
    .uniform_work_group_size: 1
    .uses_dynamic_stack: false
    .vgpr_count:     29
    .vgpr_spill_count: 0
    .wavefront_size: 64
  - .agpr_count:     0
    .args:
      - .offset:         0
        .size:           4
        .value_kind:     by_value
      - .offset:         4
        .size:           4
        .value_kind:     by_value
      - .offset:         8
        .size:           4
        .value_kind:     by_value
      - .actual_access:  read_only
        .address_space:  global
        .offset:         16
        .size:           8
        .value_kind:     global_buffer
      - .actual_access:  read_only
        .address_space:  global
        .offset:         24
        .size:           8
        .value_kind:     global_buffer
      - .actual_access:  read_only
        .address_space:  global
        .offset:         32
        .size:           8
        .value_kind:     global_buffer
      - .address_space:  global
        .offset:         40
        .size:           8
        .value_kind:     global_buffer
    .group_segment_fixed_size: 80
    .kernarg_segment_align: 8
    .kernarg_segment_size: 48
    .language:       OpenCL C
    .language_version:
      - 2
      - 0
    .max_flat_workgroup_size: 4
    .name:           _ZN9rocsparseL44gtsv_nopivot_strided_batch_pcr_shared_kernelILj4EfEEviiiPKT0_S3_S3_PS1_
    .private_segment_fixed_size: 0
    .sgpr_count:     14
    .sgpr_spill_count: 0
    .symbol:         _ZN9rocsparseL44gtsv_nopivot_strided_batch_pcr_shared_kernelILj4EfEEviiiPKT0_S3_S3_PS1_.kd
    .uniform_work_group_size: 1
    .uses_dynamic_stack: false
    .vgpr_count:     22
    .vgpr_spill_count: 0
    .wavefront_size: 64
  - .agpr_count:     0
    .args:
      - .offset:         0
        .size:           4
        .value_kind:     by_value
      - .offset:         4
        .size:           4
        .value_kind:     by_value
      - .offset:         8
        .size:           4
        .value_kind:     by_value
      - .actual_access:  read_only
        .address_space:  global
        .offset:         16
        .size:           8
        .value_kind:     global_buffer
      - .actual_access:  read_only
        .address_space:  global
        .offset:         24
        .size:           8
        .value_kind:     global_buffer
      - .actual_access:  read_only
        .address_space:  global
        .offset:         32
        .size:           8
        .value_kind:     global_buffer
      - .address_space:  global
        .offset:         40
        .size:           8
        .value_kind:     global_buffer
    .group_segment_fixed_size: 160
    .kernarg_segment_align: 8
    .kernarg_segment_size: 48
    .language:       OpenCL C
    .language_version:
      - 2
      - 0
    .max_flat_workgroup_size: 8
    .name:           _ZN9rocsparseL44gtsv_nopivot_strided_batch_pcr_shared_kernelILj8EfEEviiiPKT0_S3_S3_PS1_
    .private_segment_fixed_size: 0
    .sgpr_count:     14
    .sgpr_spill_count: 0
    .symbol:         _ZN9rocsparseL44gtsv_nopivot_strided_batch_pcr_shared_kernelILj8EfEEviiiPKT0_S3_S3_PS1_.kd
    .uniform_work_group_size: 1
    .uses_dynamic_stack: false
    .vgpr_count:     23
    .vgpr_spill_count: 0
    .wavefront_size: 64
  - .agpr_count:     0
    .args:
      - .offset:         0
        .size:           4
        .value_kind:     by_value
      - .offset:         4
        .size:           4
        .value_kind:     by_value
      - .offset:         8
        .size:           4
        .value_kind:     by_value
      - .actual_access:  read_only
        .address_space:  global
        .offset:         16
        .size:           8
        .value_kind:     global_buffer
      - .actual_access:  read_only
        .address_space:  global
        .offset:         24
        .size:           8
        .value_kind:     global_buffer
      - .actual_access:  read_only
        .address_space:  global
        .offset:         32
        .size:           8
        .value_kind:     global_buffer
      - .address_space:  global
        .offset:         40
        .size:           8
        .value_kind:     global_buffer
    .group_segment_fixed_size: 320
    .kernarg_segment_align: 8
    .kernarg_segment_size: 48
    .language:       OpenCL C
    .language_version:
      - 2
      - 0
    .max_flat_workgroup_size: 16
    .name:           _ZN9rocsparseL44gtsv_nopivot_strided_batch_pcr_shared_kernelILj16EfEEviiiPKT0_S3_S3_PS1_
    .private_segment_fixed_size: 0
    .sgpr_count:     14
    .sgpr_spill_count: 0
    .symbol:         _ZN9rocsparseL44gtsv_nopivot_strided_batch_pcr_shared_kernelILj16EfEEviiiPKT0_S3_S3_PS1_.kd
    .uniform_work_group_size: 1
    .uses_dynamic_stack: false
    .vgpr_count:     23
    .vgpr_spill_count: 0
    .wavefront_size: 64
  - .agpr_count:     0
    .args:
      - .offset:         0
        .size:           4
        .value_kind:     by_value
      - .offset:         4
        .size:           4
        .value_kind:     by_value
      - .offset:         8
        .size:           4
        .value_kind:     by_value
      - .actual_access:  read_only
        .address_space:  global
        .offset:         16
        .size:           8
        .value_kind:     global_buffer
      - .actual_access:  read_only
        .address_space:  global
        .offset:         24
        .size:           8
        .value_kind:     global_buffer
      - .actual_access:  read_only
        .address_space:  global
        .offset:         32
        .size:           8
        .value_kind:     global_buffer
      - .address_space:  global
        .offset:         40
        .size:           8
        .value_kind:     global_buffer
    .group_segment_fixed_size: 640
    .kernarg_segment_align: 8
    .kernarg_segment_size: 48
    .language:       OpenCL C
    .language_version:
      - 2
      - 0
    .max_flat_workgroup_size: 32
    .name:           _ZN9rocsparseL44gtsv_nopivot_strided_batch_pcr_shared_kernelILj32EfEEviiiPKT0_S3_S3_PS1_
    .private_segment_fixed_size: 0
    .sgpr_count:     14
    .sgpr_spill_count: 0
    .symbol:         _ZN9rocsparseL44gtsv_nopivot_strided_batch_pcr_shared_kernelILj32EfEEviiiPKT0_S3_S3_PS1_.kd
    .uniform_work_group_size: 1
    .uses_dynamic_stack: false
    .vgpr_count:     23
    .vgpr_spill_count: 0
    .wavefront_size: 64
  - .agpr_count:     0
    .args:
      - .offset:         0
        .size:           4
        .value_kind:     by_value
      - .offset:         4
        .size:           4
        .value_kind:     by_value
      - .offset:         8
        .size:           4
        .value_kind:     by_value
      - .actual_access:  read_only
        .address_space:  global
        .offset:         16
        .size:           8
        .value_kind:     global_buffer
      - .actual_access:  read_only
        .address_space:  global
        .offset:         24
        .size:           8
        .value_kind:     global_buffer
      - .actual_access:  read_only
        .address_space:  global
        .offset:         32
        .size:           8
        .value_kind:     global_buffer
      - .address_space:  global
        .offset:         40
        .size:           8
        .value_kind:     global_buffer
    .group_segment_fixed_size: 1280
    .kernarg_segment_align: 8
    .kernarg_segment_size: 48
    .language:       OpenCL C
    .language_version:
      - 2
      - 0
    .max_flat_workgroup_size: 64
    .name:           _ZN9rocsparseL44gtsv_nopivot_strided_batch_pcr_shared_kernelILj64EfEEviiiPKT0_S3_S3_PS1_
    .private_segment_fixed_size: 0
    .sgpr_count:     14
    .sgpr_spill_count: 0
    .symbol:         _ZN9rocsparseL44gtsv_nopivot_strided_batch_pcr_shared_kernelILj64EfEEviiiPKT0_S3_S3_PS1_.kd
    .uniform_work_group_size: 1
    .uses_dynamic_stack: false
    .vgpr_count:     23
    .vgpr_spill_count: 0
    .wavefront_size: 64
  - .agpr_count:     0
    .args:
      - .offset:         0
        .size:           4
        .value_kind:     by_value
      - .offset:         4
        .size:           4
        .value_kind:     by_value
      - .offset:         8
        .size:           4
        .value_kind:     by_value
      - .actual_access:  read_only
        .address_space:  global
        .offset:         16
        .size:           8
        .value_kind:     global_buffer
      - .actual_access:  read_only
        .address_space:  global
        .offset:         24
        .size:           8
        .value_kind:     global_buffer
      - .actual_access:  read_only
        .address_space:  global
        .offset:         32
        .size:           8
        .value_kind:     global_buffer
      - .address_space:  global
        .offset:         40
        .size:           8
        .value_kind:     global_buffer
    .group_segment_fixed_size: 2560
    .kernarg_segment_align: 8
    .kernarg_segment_size: 48
    .language:       OpenCL C
    .language_version:
      - 2
      - 0
    .max_flat_workgroup_size: 128
    .name:           _ZN9rocsparseL44gtsv_nopivot_strided_batch_pcr_shared_kernelILj128EfEEviiiPKT0_S3_S3_PS1_
    .private_segment_fixed_size: 0
    .sgpr_count:     14
    .sgpr_spill_count: 0
    .symbol:         _ZN9rocsparseL44gtsv_nopivot_strided_batch_pcr_shared_kernelILj128EfEEviiiPKT0_S3_S3_PS1_.kd
    .uniform_work_group_size: 1
    .uses_dynamic_stack: false
    .vgpr_count:     23
    .vgpr_spill_count: 0
    .wavefront_size: 64
  - .agpr_count:     0
    .args:
      - .offset:         0
        .size:           4
        .value_kind:     by_value
      - .offset:         4
        .size:           4
        .value_kind:     by_value
      - .offset:         8
        .size:           4
        .value_kind:     by_value
      - .actual_access:  read_only
        .address_space:  global
        .offset:         16
        .size:           8
        .value_kind:     global_buffer
      - .actual_access:  read_only
        .address_space:  global
        .offset:         24
        .size:           8
        .value_kind:     global_buffer
      - .actual_access:  read_only
        .address_space:  global
        .offset:         32
        .size:           8
        .value_kind:     global_buffer
      - .address_space:  global
        .offset:         40
        .size:           8
        .value_kind:     global_buffer
    .group_segment_fixed_size: 5120
    .kernarg_segment_align: 8
    .kernarg_segment_size: 48
    .language:       OpenCL C
    .language_version:
      - 2
      - 0
    .max_flat_workgroup_size: 256
    .name:           _ZN9rocsparseL44gtsv_nopivot_strided_batch_pcr_shared_kernelILj256EfEEviiiPKT0_S3_S3_PS1_
    .private_segment_fixed_size: 0
    .sgpr_count:     14
    .sgpr_spill_count: 0
    .symbol:         _ZN9rocsparseL44gtsv_nopivot_strided_batch_pcr_shared_kernelILj256EfEEviiiPKT0_S3_S3_PS1_.kd
    .uniform_work_group_size: 1
    .uses_dynamic_stack: false
    .vgpr_count:     23
    .vgpr_spill_count: 0
    .wavefront_size: 64
  - .agpr_count:     0
    .args:
      - .offset:         0
        .size:           4
        .value_kind:     by_value
      - .offset:         4
        .size:           4
        .value_kind:     by_value
      - .offset:         8
        .size:           4
        .value_kind:     by_value
      - .actual_access:  read_only
        .address_space:  global
        .offset:         16
        .size:           8
        .value_kind:     global_buffer
      - .actual_access:  read_only
        .address_space:  global
        .offset:         24
        .size:           8
        .value_kind:     global_buffer
      - .actual_access:  read_only
        .address_space:  global
        .offset:         32
        .size:           8
        .value_kind:     global_buffer
      - .address_space:  global
        .offset:         40
        .size:           8
        .value_kind:     global_buffer
    .group_segment_fixed_size: 10240
    .kernarg_segment_align: 8
    .kernarg_segment_size: 48
    .language:       OpenCL C
    .language_version:
      - 2
      - 0
    .max_flat_workgroup_size: 512
    .name:           _ZN9rocsparseL44gtsv_nopivot_strided_batch_pcr_shared_kernelILj512EfEEviiiPKT0_S3_S3_PS1_
    .private_segment_fixed_size: 0
    .sgpr_count:     14
    .sgpr_spill_count: 0
    .symbol:         _ZN9rocsparseL44gtsv_nopivot_strided_batch_pcr_shared_kernelILj512EfEEviiiPKT0_S3_S3_PS1_.kd
    .uniform_work_group_size: 1
    .uses_dynamic_stack: false
    .vgpr_count:     23
    .vgpr_spill_count: 0
    .wavefront_size: 64
  - .agpr_count:     0
    .args:
      - .offset:         0
        .size:           4
        .value_kind:     by_value
      - .offset:         4
        .size:           4
        .value_kind:     by_value
      - .offset:         8
        .size:           4
        .value_kind:     by_value
      - .offset:         12
        .size:           4
        .value_kind:     by_value
      - .actual_access:  read_only
        .address_space:  global
        .offset:         16
        .size:           8
        .value_kind:     global_buffer
      - .actual_access:  read_only
        .address_space:  global
        .offset:         24
        .size:           8
        .value_kind:     global_buffer
      - .actual_access:  read_only
        .address_space:  global
        .offset:         32
        .size:           8
        .value_kind:     global_buffer
      - .actual_access:  read_only
        .address_space:  global
        .offset:         40
        .size:           8
        .value_kind:     global_buffer
      - .actual_access:  write_only
        .address_space:  global
        .offset:         48
        .size:           8
        .value_kind:     global_buffer
      - .actual_access:  write_only
        .address_space:  global
        .offset:         56
        .size:           8
        .value_kind:     global_buffer
      - .actual_access:  write_only
        .address_space:  global
        .offset:         64
        .size:           8
        .value_kind:     global_buffer
      - .actual_access:  write_only
        .address_space:  global
        .offset:         72
        .size:           8
        .value_kind:     global_buffer
    .group_segment_fixed_size: 0
    .kernarg_segment_align: 8
    .kernarg_segment_size: 80
    .language:       OpenCL C
    .language_version:
      - 2
      - 0
    .max_flat_workgroup_size: 256
    .name:           _ZN9rocsparseL49gtsv_nopivot_strided_batch_pcr_pow2_stage1_kernelILj256EfEEviiiiPKT0_S3_S3_S3_PS1_S4_S4_S4_
    .private_segment_fixed_size: 0
    .sgpr_count:     31
    .sgpr_spill_count: 0
    .symbol:         _ZN9rocsparseL49gtsv_nopivot_strided_batch_pcr_pow2_stage1_kernelILj256EfEEviiiiPKT0_S3_S3_S3_PS1_S4_S4_S4_.kd
    .uniform_work_group_size: 1
    .uses_dynamic_stack: false
    .vgpr_count:     20
    .vgpr_spill_count: 0
    .wavefront_size: 64
  - .agpr_count:     0
    .args:
      - .offset:         0
        .size:           4
        .value_kind:     by_value
      - .offset:         4
        .size:           4
        .value_kind:     by_value
      - .offset:         8
        .size:           4
        .value_kind:     by_value
      - .actual_access:  read_only
        .address_space:  global
        .offset:         16
        .size:           8
        .value_kind:     global_buffer
      - .actual_access:  read_only
        .address_space:  global
        .offset:         24
        .size:           8
        .value_kind:     global_buffer
      - .actual_access:  read_only
        .address_space:  global
        .offset:         32
        .size:           8
        .value_kind:     global_buffer
      - .actual_access:  read_only
        .address_space:  global
        .offset:         40
        .size:           8
        .value_kind:     global_buffer
      - .actual_access:  write_only
        .address_space:  global
        .offset:         48
        .size:           8
        .value_kind:     global_buffer
      - .offset:         56
        .size:           4
        .value_kind:     hidden_block_count_x
      - .offset:         60
        .size:           4
        .value_kind:     hidden_block_count_y
      - .offset:         64
        .size:           4
        .value_kind:     hidden_block_count_z
      - .offset:         68
        .size:           2
        .value_kind:     hidden_group_size_x
      - .offset:         70
        .size:           2
        .value_kind:     hidden_group_size_y
      - .offset:         72
        .size:           2
        .value_kind:     hidden_group_size_z
      - .offset:         74
        .size:           2
        .value_kind:     hidden_remainder_x
      - .offset:         76
        .size:           2
        .value_kind:     hidden_remainder_y
      - .offset:         78
        .size:           2
        .value_kind:     hidden_remainder_z
      - .offset:         96
        .size:           8
        .value_kind:     hidden_global_offset_x
      - .offset:         104
        .size:           8
        .value_kind:     hidden_global_offset_y
      - .offset:         112
        .size:           8
        .value_kind:     hidden_global_offset_z
      - .offset:         120
        .size:           2
        .value_kind:     hidden_grid_dims
    .group_segment_fixed_size: 10240
    .kernarg_segment_align: 8
    .kernarg_segment_size: 312
    .language:       OpenCL C
    .language_version:
      - 2
      - 0
    .max_flat_workgroup_size: 256
    .name:           _ZN9rocsparseL48gtsv_nopivot_strided_batch_cr_pow2_stage2_kernelILj256EfEEviiiPKT0_S3_S3_S3_PS1_
    .private_segment_fixed_size: 0
    .sgpr_count:     30
    .sgpr_spill_count: 0
    .symbol:         _ZN9rocsparseL48gtsv_nopivot_strided_batch_cr_pow2_stage2_kernelILj256EfEEviiiPKT0_S3_S3_S3_PS1_.kd
    .uniform_work_group_size: 1
    .uses_dynamic_stack: false
    .vgpr_count:     24
    .vgpr_spill_count: 0
    .wavefront_size: 64
  - .agpr_count:     0
    .args:
      - .offset:         0
        .size:           4
        .value_kind:     by_value
      - .offset:         4
        .size:           4
        .value_kind:     by_value
      - .offset:         8
        .size:           4
        .value_kind:     by_value
      - .offset:         12
        .size:           4
        .value_kind:     by_value
      - .actual_access:  read_only
        .address_space:  global
        .offset:         16
        .size:           8
        .value_kind:     global_buffer
      - .actual_access:  read_only
        .address_space:  global
        .offset:         24
        .size:           8
        .value_kind:     global_buffer
      - .actual_access:  read_only
        .address_space:  global
        .offset:         32
        .size:           8
        .value_kind:     global_buffer
      - .actual_access:  read_only
        .address_space:  global
        .offset:         40
        .size:           8
        .value_kind:     global_buffer
      - .actual_access:  write_only
        .address_space:  global
        .offset:         48
        .size:           8
        .value_kind:     global_buffer
      - .actual_access:  write_only
        .address_space:  global
        .offset:         56
        .size:           8
        .value_kind:     global_buffer
      - .actual_access:  write_only
        .address_space:  global
        .offset:         64
        .size:           8
        .value_kind:     global_buffer
      - .actual_access:  write_only
        .address_space:  global
        .offset:         72
        .size:           8
        .value_kind:     global_buffer
    .group_segment_fixed_size: 0
    .kernarg_segment_align: 8
    .kernarg_segment_size: 80
    .language:       OpenCL C
    .language_version:
      - 2
      - 0
    .max_flat_workgroup_size: 256
    .name:           _ZN9rocsparseL44gtsv_nopivot_strided_batch_pcr_stage1_kernelILj256EfEEviiiiPKT0_S3_S3_S3_PS1_S4_S4_S4_
    .private_segment_fixed_size: 0
    .sgpr_count:     30
    .sgpr_spill_count: 0
    .symbol:         _ZN9rocsparseL44gtsv_nopivot_strided_batch_pcr_stage1_kernelILj256EfEEviiiiPKT0_S3_S3_S3_PS1_S4_S4_S4_.kd
    .uniform_work_group_size: 1
    .uses_dynamic_stack: false
    .vgpr_count:     20
    .vgpr_spill_count: 0
    .wavefront_size: 64
  - .agpr_count:     0
    .args:
      - .offset:         0
        .size:           4
        .value_kind:     by_value
      - .offset:         4
        .size:           4
        .value_kind:     by_value
      - .offset:         8
        .size:           4
        .value_kind:     by_value
      - .actual_access:  read_only
        .address_space:  global
        .offset:         16
        .size:           8
        .value_kind:     global_buffer
      - .actual_access:  read_only
        .address_space:  global
        .offset:         24
        .size:           8
        .value_kind:     global_buffer
      - .actual_access:  read_only
        .address_space:  global
        .offset:         32
        .size:           8
        .value_kind:     global_buffer
      - .actual_access:  read_only
        .address_space:  global
        .offset:         40
        .size:           8
        .value_kind:     global_buffer
      - .actual_access:  write_only
        .address_space:  global
        .offset:         48
        .size:           8
        .value_kind:     global_buffer
      - .offset:         56
        .size:           4
        .value_kind:     hidden_block_count_x
      - .offset:         60
        .size:           4
        .value_kind:     hidden_block_count_y
      - .offset:         64
        .size:           4
        .value_kind:     hidden_block_count_z
      - .offset:         68
        .size:           2
        .value_kind:     hidden_group_size_x
      - .offset:         70
        .size:           2
        .value_kind:     hidden_group_size_y
      - .offset:         72
        .size:           2
        .value_kind:     hidden_group_size_z
      - .offset:         74
        .size:           2
        .value_kind:     hidden_remainder_x
      - .offset:         76
        .size:           2
        .value_kind:     hidden_remainder_y
      - .offset:         78
        .size:           2
        .value_kind:     hidden_remainder_z
      - .offset:         96
        .size:           8
        .value_kind:     hidden_global_offset_x
      - .offset:         104
        .size:           8
        .value_kind:     hidden_global_offset_y
      - .offset:         112
        .size:           8
        .value_kind:     hidden_global_offset_z
      - .offset:         120
        .size:           2
        .value_kind:     hidden_grid_dims
    .group_segment_fixed_size: 10240
    .kernarg_segment_align: 8
    .kernarg_segment_size: 312
    .language:       OpenCL C
    .language_version:
      - 2
      - 0
    .max_flat_workgroup_size: 512
    .name:           _ZN9rocsparseL44gtsv_nopivot_strided_batch_pcr_stage2_kernelILj512EfEEviiiPKT0_S3_S3_S3_PS1_
    .private_segment_fixed_size: 0
    .sgpr_count:     20
    .sgpr_spill_count: 0
    .symbol:         _ZN9rocsparseL44gtsv_nopivot_strided_batch_pcr_stage2_kernelILj512EfEEviiiPKT0_S3_S3_S3_PS1_.kd
    .uniform_work_group_size: 1
    .uses_dynamic_stack: false
    .vgpr_count:     29
    .vgpr_spill_count: 0
    .wavefront_size: 64
  - .agpr_count:     0
    .args:
      - .offset:         0
        .size:           4
        .value_kind:     by_value
      - .offset:         4
        .size:           4
        .value_kind:     by_value
      - .offset:         8
        .size:           4
        .value_kind:     by_value
      - .actual_access:  read_only
        .address_space:  global
        .offset:         16
        .size:           8
        .value_kind:     global_buffer
      - .actual_access:  read_only
        .address_space:  global
        .offset:         24
        .size:           8
        .value_kind:     global_buffer
      - .actual_access:  read_only
        .address_space:  global
        .offset:         32
        .size:           8
        .value_kind:     global_buffer
      - .address_space:  global
        .offset:         40
        .size:           8
        .value_kind:     global_buffer
    .group_segment_fixed_size: 152
    .kernarg_segment_align: 8
    .kernarg_segment_size: 48
    .language:       OpenCL C
    .language_version:
      - 2
      - 0
    .max_flat_workgroup_size: 2
    .name:           _ZN9rocsparseL49gtsv_nopivot_strided_batch_pcr_pow2_shared_kernelILj2EdEEviiiPKT0_S3_S3_PS1_
    .private_segment_fixed_size: 0
    .sgpr_count:     20
    .sgpr_spill_count: 0
    .symbol:         _ZN9rocsparseL49gtsv_nopivot_strided_batch_pcr_pow2_shared_kernelILj2EdEEviiiPKT0_S3_S3_PS1_.kd
    .uniform_work_group_size: 1
    .uses_dynamic_stack: false
    .vgpr_count:     27
    .vgpr_spill_count: 0
    .wavefront_size: 64
  - .agpr_count:     0
    .args:
      - .offset:         0
        .size:           4
        .value_kind:     by_value
      - .offset:         4
        .size:           4
        .value_kind:     by_value
      - .offset:         8
        .size:           4
        .value_kind:     by_value
      - .actual_access:  read_only
        .address_space:  global
        .offset:         16
        .size:           8
        .value_kind:     global_buffer
      - .actual_access:  read_only
        .address_space:  global
        .offset:         24
        .size:           8
        .value_kind:     global_buffer
      - .actual_access:  read_only
        .address_space:  global
        .offset:         32
        .size:           8
        .value_kind:     global_buffer
      - .address_space:  global
        .offset:         40
        .size:           8
        .value_kind:     global_buffer
    .group_segment_fixed_size: 232
    .kernarg_segment_align: 8
    .kernarg_segment_size: 48
    .language:       OpenCL C
    .language_version:
      - 2
      - 0
    .max_flat_workgroup_size: 4
    .name:           _ZN9rocsparseL49gtsv_nopivot_strided_batch_pcr_pow2_shared_kernelILj4EdEEviiiPKT0_S3_S3_PS1_
    .private_segment_fixed_size: 0
    .sgpr_count:     20
    .sgpr_spill_count: 0
    .symbol:         _ZN9rocsparseL49gtsv_nopivot_strided_batch_pcr_pow2_shared_kernelILj4EdEEviiiPKT0_S3_S3_PS1_.kd
    .uniform_work_group_size: 1
    .uses_dynamic_stack: false
    .vgpr_count:     44
    .vgpr_spill_count: 0
    .wavefront_size: 64
  - .agpr_count:     0
    .args:
      - .offset:         0
        .size:           4
        .value_kind:     by_value
      - .offset:         4
        .size:           4
        .value_kind:     by_value
      - .offset:         8
        .size:           4
        .value_kind:     by_value
      - .actual_access:  read_only
        .address_space:  global
        .offset:         16
        .size:           8
        .value_kind:     global_buffer
      - .actual_access:  read_only
        .address_space:  global
        .offset:         24
        .size:           8
        .value_kind:     global_buffer
      - .actual_access:  read_only
        .address_space:  global
        .offset:         32
        .size:           8
        .value_kind:     global_buffer
      - .address_space:  global
        .offset:         40
        .size:           8
        .value_kind:     global_buffer
    .group_segment_fixed_size: 392
    .kernarg_segment_align: 8
    .kernarg_segment_size: 48
    .language:       OpenCL C
    .language_version:
      - 2
      - 0
    .max_flat_workgroup_size: 8
    .name:           _ZN9rocsparseL49gtsv_nopivot_strided_batch_pcr_pow2_shared_kernelILj8EdEEviiiPKT0_S3_S3_PS1_
    .private_segment_fixed_size: 0
    .sgpr_count:     20
    .sgpr_spill_count: 0
    .symbol:         _ZN9rocsparseL49gtsv_nopivot_strided_batch_pcr_pow2_shared_kernelILj8EdEEviiiPKT0_S3_S3_PS1_.kd
    .uniform_work_group_size: 1
    .uses_dynamic_stack: false
    .vgpr_count:     47
    .vgpr_spill_count: 0
    .wavefront_size: 64
  - .agpr_count:     0
    .args:
      - .offset:         0
        .size:           4
        .value_kind:     by_value
      - .offset:         4
        .size:           4
        .value_kind:     by_value
      - .offset:         8
        .size:           4
        .value_kind:     by_value
      - .actual_access:  read_only
        .address_space:  global
        .offset:         16
        .size:           8
        .value_kind:     global_buffer
      - .actual_access:  read_only
        .address_space:  global
        .offset:         24
        .size:           8
        .value_kind:     global_buffer
      - .actual_access:  read_only
        .address_space:  global
        .offset:         32
        .size:           8
        .value_kind:     global_buffer
      - .address_space:  global
        .offset:         40
        .size:           8
        .value_kind:     global_buffer
    .group_segment_fixed_size: 712
    .kernarg_segment_align: 8
    .kernarg_segment_size: 48
    .language:       OpenCL C
    .language_version:
      - 2
      - 0
    .max_flat_workgroup_size: 16
    .name:           _ZN9rocsparseL49gtsv_nopivot_strided_batch_pcr_pow2_shared_kernelILj16EdEEviiiPKT0_S3_S3_PS1_
    .private_segment_fixed_size: 0
    .sgpr_count:     20
    .sgpr_spill_count: 0
    .symbol:         _ZN9rocsparseL49gtsv_nopivot_strided_batch_pcr_pow2_shared_kernelILj16EdEEviiiPKT0_S3_S3_PS1_.kd
    .uniform_work_group_size: 1
    .uses_dynamic_stack: false
    .vgpr_count:     47
    .vgpr_spill_count: 0
    .wavefront_size: 64
  - .agpr_count:     0
    .args:
      - .offset:         0
        .size:           4
        .value_kind:     by_value
      - .offset:         4
        .size:           4
        .value_kind:     by_value
      - .offset:         8
        .size:           4
        .value_kind:     by_value
      - .actual_access:  read_only
        .address_space:  global
        .offset:         16
        .size:           8
        .value_kind:     global_buffer
      - .actual_access:  read_only
        .address_space:  global
        .offset:         24
        .size:           8
        .value_kind:     global_buffer
      - .actual_access:  read_only
        .address_space:  global
        .offset:         32
        .size:           8
        .value_kind:     global_buffer
      - .address_space:  global
        .offset:         40
        .size:           8
        .value_kind:     global_buffer
    .group_segment_fixed_size: 1352
    .kernarg_segment_align: 8
    .kernarg_segment_size: 48
    .language:       OpenCL C
    .language_version:
      - 2
      - 0
    .max_flat_workgroup_size: 32
    .name:           _ZN9rocsparseL49gtsv_nopivot_strided_batch_pcr_pow2_shared_kernelILj32EdEEviiiPKT0_S3_S3_PS1_
    .private_segment_fixed_size: 0
    .sgpr_count:     20
    .sgpr_spill_count: 0
    .symbol:         _ZN9rocsparseL49gtsv_nopivot_strided_batch_pcr_pow2_shared_kernelILj32EdEEviiiPKT0_S3_S3_PS1_.kd
    .uniform_work_group_size: 1
    .uses_dynamic_stack: false
    .vgpr_count:     47
    .vgpr_spill_count: 0
    .wavefront_size: 64
  - .agpr_count:     0
    .args:
      - .offset:         0
        .size:           4
        .value_kind:     by_value
      - .offset:         4
        .size:           4
        .value_kind:     by_value
      - .offset:         8
        .size:           4
        .value_kind:     by_value
      - .actual_access:  read_only
        .address_space:  global
        .offset:         16
        .size:           8
        .value_kind:     global_buffer
      - .actual_access:  read_only
        .address_space:  global
        .offset:         24
        .size:           8
        .value_kind:     global_buffer
      - .actual_access:  read_only
        .address_space:  global
        .offset:         32
        .size:           8
        .value_kind:     global_buffer
      - .address_space:  global
        .offset:         40
        .size:           8
        .value_kind:     global_buffer
    .group_segment_fixed_size: 2632
    .kernarg_segment_align: 8
    .kernarg_segment_size: 48
    .language:       OpenCL C
    .language_version:
      - 2
      - 0
    .max_flat_workgroup_size: 64
    .name:           _ZN9rocsparseL49gtsv_nopivot_strided_batch_pcr_pow2_shared_kernelILj64EdEEviiiPKT0_S3_S3_PS1_
    .private_segment_fixed_size: 0
    .sgpr_count:     20
    .sgpr_spill_count: 0
    .symbol:         _ZN9rocsparseL49gtsv_nopivot_strided_batch_pcr_pow2_shared_kernelILj64EdEEviiiPKT0_S3_S3_PS1_.kd
    .uniform_work_group_size: 1
    .uses_dynamic_stack: false
    .vgpr_count:     48
    .vgpr_spill_count: 0
    .wavefront_size: 64
  - .agpr_count:     0
    .args:
      - .offset:         0
        .size:           4
        .value_kind:     by_value
      - .offset:         4
        .size:           4
        .value_kind:     by_value
      - .offset:         8
        .size:           4
        .value_kind:     by_value
      - .actual_access:  read_only
        .address_space:  global
        .offset:         16
        .size:           8
        .value_kind:     global_buffer
      - .actual_access:  read_only
        .address_space:  global
        .offset:         24
        .size:           8
        .value_kind:     global_buffer
      - .actual_access:  read_only
        .address_space:  global
        .offset:         32
        .size:           8
        .value_kind:     global_buffer
      - .address_space:  global
        .offset:         40
        .size:           8
        .value_kind:     global_buffer
    .group_segment_fixed_size: 7680
    .kernarg_segment_align: 8
    .kernarg_segment_size: 48
    .language:       OpenCL C
    .language_version:
      - 2
      - 0
    .max_flat_workgroup_size: 64
    .name:           _ZN9rocsparseL51gtsv_nopivot_strided_batch_crpcr_pow2_shared_kernelILj64ELj64EdEEviiiPKT1_S3_S3_PS1_
    .private_segment_fixed_size: 0
    .sgpr_count:     20
    .sgpr_spill_count: 0
    .symbol:         _ZN9rocsparseL51gtsv_nopivot_strided_batch_crpcr_pow2_shared_kernelILj64ELj64EdEEviiiPKT1_S3_S3_PS1_.kd
    .uniform_work_group_size: 1
    .uses_dynamic_stack: false
    .vgpr_count:     42
    .vgpr_spill_count: 0
    .wavefront_size: 64
  - .agpr_count:     0
    .args:
      - .offset:         0
        .size:           4
        .value_kind:     by_value
      - .offset:         4
        .size:           4
        .value_kind:     by_value
      - .offset:         8
        .size:           4
        .value_kind:     by_value
      - .actual_access:  read_only
        .address_space:  global
        .offset:         16
        .size:           8
        .value_kind:     global_buffer
      - .actual_access:  read_only
        .address_space:  global
        .offset:         24
        .size:           8
        .value_kind:     global_buffer
      - .actual_access:  read_only
        .address_space:  global
        .offset:         32
        .size:           8
        .value_kind:     global_buffer
      - .address_space:  global
        .offset:         40
        .size:           8
        .value_kind:     global_buffer
    .group_segment_fixed_size: 12800
    .kernarg_segment_align: 8
    .kernarg_segment_size: 48
    .language:       OpenCL C
    .language_version:
      - 2
      - 0
    .max_flat_workgroup_size: 128
    .name:           _ZN9rocsparseL51gtsv_nopivot_strided_batch_crpcr_pow2_shared_kernelILj128ELj64EdEEviiiPKT1_S3_S3_PS1_
    .private_segment_fixed_size: 0
    .sgpr_count:     20
    .sgpr_spill_count: 0
    .symbol:         _ZN9rocsparseL51gtsv_nopivot_strided_batch_crpcr_pow2_shared_kernelILj128ELj64EdEEviiiPKT1_S3_S3_PS1_.kd
    .uniform_work_group_size: 1
    .uses_dynamic_stack: false
    .vgpr_count:     40
    .vgpr_spill_count: 0
    .wavefront_size: 64
  - .agpr_count:     0
    .args:
      - .offset:         0
        .size:           4
        .value_kind:     by_value
      - .offset:         4
        .size:           4
        .value_kind:     by_value
      - .offset:         8
        .size:           4
        .value_kind:     by_value
      - .actual_access:  read_only
        .address_space:  global
        .offset:         16
        .size:           8
        .value_kind:     global_buffer
      - .actual_access:  read_only
        .address_space:  global
        .offset:         24
        .size:           8
        .value_kind:     global_buffer
      - .actual_access:  read_only
        .address_space:  global
        .offset:         32
        .size:           8
        .value_kind:     global_buffer
      - .address_space:  global
        .offset:         40
        .size:           8
        .value_kind:     global_buffer
    .group_segment_fixed_size: 23040
    .kernarg_segment_align: 8
    .kernarg_segment_size: 48
    .language:       OpenCL C
    .language_version:
      - 2
      - 0
    .max_flat_workgroup_size: 256
    .name:           _ZN9rocsparseL51gtsv_nopivot_strided_batch_crpcr_pow2_shared_kernelILj256ELj64EdEEviiiPKT1_S3_S3_PS1_
    .private_segment_fixed_size: 0
    .sgpr_count:     20
    .sgpr_spill_count: 0
    .symbol:         _ZN9rocsparseL51gtsv_nopivot_strided_batch_crpcr_pow2_shared_kernelILj256ELj64EdEEviiiPKT1_S3_S3_PS1_.kd
    .uniform_work_group_size: 1
    .uses_dynamic_stack: false
    .vgpr_count:     40
    .vgpr_spill_count: 0
    .wavefront_size: 64
  - .agpr_count:     0
    .args:
      - .offset:         0
        .size:           4
        .value_kind:     by_value
      - .offset:         4
        .size:           4
        .value_kind:     by_value
      - .offset:         8
        .size:           4
        .value_kind:     by_value
      - .actual_access:  read_only
        .address_space:  global
        .offset:         16
        .size:           8
        .value_kind:     global_buffer
      - .actual_access:  read_only
        .address_space:  global
        .offset:         24
        .size:           8
        .value_kind:     global_buffer
      - .actual_access:  read_only
        .address_space:  global
        .offset:         32
        .size:           8
        .value_kind:     global_buffer
      - .address_space:  global
        .offset:         40
        .size:           8
        .value_kind:     global_buffer
    .group_segment_fixed_size: 160
    .kernarg_segment_align: 8
    .kernarg_segment_size: 48
    .language:       OpenCL C
    .language_version:
      - 2
      - 0
    .max_flat_workgroup_size: 4
    .name:           _ZN9rocsparseL44gtsv_nopivot_strided_batch_pcr_shared_kernelILj4EdEEviiiPKT0_S3_S3_PS1_
    .private_segment_fixed_size: 0
    .sgpr_count:     14
    .sgpr_spill_count: 0
    .symbol:         _ZN9rocsparseL44gtsv_nopivot_strided_batch_pcr_shared_kernelILj4EdEEviiiPKT0_S3_S3_PS1_.kd
    .uniform_work_group_size: 1
    .uses_dynamic_stack: false
    .vgpr_count:     37
    .vgpr_spill_count: 0
    .wavefront_size: 64
  - .agpr_count:     0
    .args:
      - .offset:         0
        .size:           4
        .value_kind:     by_value
      - .offset:         4
        .size:           4
        .value_kind:     by_value
      - .offset:         8
        .size:           4
        .value_kind:     by_value
      - .actual_access:  read_only
        .address_space:  global
        .offset:         16
        .size:           8
        .value_kind:     global_buffer
      - .actual_access:  read_only
        .address_space:  global
        .offset:         24
        .size:           8
        .value_kind:     global_buffer
      - .actual_access:  read_only
        .address_space:  global
        .offset:         32
        .size:           8
        .value_kind:     global_buffer
      - .address_space:  global
        .offset:         40
        .size:           8
        .value_kind:     global_buffer
    .group_segment_fixed_size: 320
    .kernarg_segment_align: 8
    .kernarg_segment_size: 48
    .language:       OpenCL C
    .language_version:
      - 2
      - 0
    .max_flat_workgroup_size: 8
    .name:           _ZN9rocsparseL44gtsv_nopivot_strided_batch_pcr_shared_kernelILj8EdEEviiiPKT0_S3_S3_PS1_
    .private_segment_fixed_size: 0
    .sgpr_count:     14
    .sgpr_spill_count: 0
    .symbol:         _ZN9rocsparseL44gtsv_nopivot_strided_batch_pcr_shared_kernelILj8EdEEviiiPKT0_S3_S3_PS1_.kd
    .uniform_work_group_size: 1
    .uses_dynamic_stack: false
    .vgpr_count:     38
    .vgpr_spill_count: 0
    .wavefront_size: 64
  - .agpr_count:     0
    .args:
      - .offset:         0
        .size:           4
        .value_kind:     by_value
      - .offset:         4
        .size:           4
        .value_kind:     by_value
      - .offset:         8
        .size:           4
        .value_kind:     by_value
      - .actual_access:  read_only
        .address_space:  global
        .offset:         16
        .size:           8
        .value_kind:     global_buffer
      - .actual_access:  read_only
        .address_space:  global
        .offset:         24
        .size:           8
        .value_kind:     global_buffer
      - .actual_access:  read_only
        .address_space:  global
        .offset:         32
        .size:           8
        .value_kind:     global_buffer
      - .address_space:  global
        .offset:         40
        .size:           8
        .value_kind:     global_buffer
    .group_segment_fixed_size: 640
    .kernarg_segment_align: 8
    .kernarg_segment_size: 48
    .language:       OpenCL C
    .language_version:
      - 2
      - 0
    .max_flat_workgroup_size: 16
    .name:           _ZN9rocsparseL44gtsv_nopivot_strided_batch_pcr_shared_kernelILj16EdEEviiiPKT0_S3_S3_PS1_
    .private_segment_fixed_size: 0
    .sgpr_count:     14
    .sgpr_spill_count: 0
    .symbol:         _ZN9rocsparseL44gtsv_nopivot_strided_batch_pcr_shared_kernelILj16EdEEviiiPKT0_S3_S3_PS1_.kd
    .uniform_work_group_size: 1
    .uses_dynamic_stack: false
    .vgpr_count:     38
    .vgpr_spill_count: 0
    .wavefront_size: 64
  - .agpr_count:     0
    .args:
      - .offset:         0
        .size:           4
        .value_kind:     by_value
      - .offset:         4
        .size:           4
        .value_kind:     by_value
      - .offset:         8
        .size:           4
        .value_kind:     by_value
      - .actual_access:  read_only
        .address_space:  global
        .offset:         16
        .size:           8
        .value_kind:     global_buffer
      - .actual_access:  read_only
        .address_space:  global
        .offset:         24
        .size:           8
        .value_kind:     global_buffer
      - .actual_access:  read_only
        .address_space:  global
        .offset:         32
        .size:           8
        .value_kind:     global_buffer
      - .address_space:  global
        .offset:         40
        .size:           8
        .value_kind:     global_buffer
    .group_segment_fixed_size: 1280
    .kernarg_segment_align: 8
    .kernarg_segment_size: 48
    .language:       OpenCL C
    .language_version:
      - 2
      - 0
    .max_flat_workgroup_size: 32
    .name:           _ZN9rocsparseL44gtsv_nopivot_strided_batch_pcr_shared_kernelILj32EdEEviiiPKT0_S3_S3_PS1_
    .private_segment_fixed_size: 0
    .sgpr_count:     14
    .sgpr_spill_count: 0
    .symbol:         _ZN9rocsparseL44gtsv_nopivot_strided_batch_pcr_shared_kernelILj32EdEEviiiPKT0_S3_S3_PS1_.kd
    .uniform_work_group_size: 1
    .uses_dynamic_stack: false
    .vgpr_count:     38
    .vgpr_spill_count: 0
    .wavefront_size: 64
  - .agpr_count:     0
    .args:
      - .offset:         0
        .size:           4
        .value_kind:     by_value
      - .offset:         4
        .size:           4
        .value_kind:     by_value
      - .offset:         8
        .size:           4
        .value_kind:     by_value
      - .actual_access:  read_only
        .address_space:  global
        .offset:         16
        .size:           8
        .value_kind:     global_buffer
      - .actual_access:  read_only
        .address_space:  global
        .offset:         24
        .size:           8
        .value_kind:     global_buffer
      - .actual_access:  read_only
        .address_space:  global
        .offset:         32
        .size:           8
        .value_kind:     global_buffer
      - .address_space:  global
        .offset:         40
        .size:           8
        .value_kind:     global_buffer
    .group_segment_fixed_size: 2560
    .kernarg_segment_align: 8
    .kernarg_segment_size: 48
    .language:       OpenCL C
    .language_version:
      - 2
      - 0
    .max_flat_workgroup_size: 64
    .name:           _ZN9rocsparseL44gtsv_nopivot_strided_batch_pcr_shared_kernelILj64EdEEviiiPKT0_S3_S3_PS1_
    .private_segment_fixed_size: 0
    .sgpr_count:     14
    .sgpr_spill_count: 0
    .symbol:         _ZN9rocsparseL44gtsv_nopivot_strided_batch_pcr_shared_kernelILj64EdEEviiiPKT0_S3_S3_PS1_.kd
    .uniform_work_group_size: 1
    .uses_dynamic_stack: false
    .vgpr_count:     38
    .vgpr_spill_count: 0
    .wavefront_size: 64
  - .agpr_count:     0
    .args:
      - .offset:         0
        .size:           4
        .value_kind:     by_value
      - .offset:         4
        .size:           4
        .value_kind:     by_value
      - .offset:         8
        .size:           4
        .value_kind:     by_value
      - .actual_access:  read_only
        .address_space:  global
        .offset:         16
        .size:           8
        .value_kind:     global_buffer
      - .actual_access:  read_only
        .address_space:  global
        .offset:         24
        .size:           8
        .value_kind:     global_buffer
      - .actual_access:  read_only
        .address_space:  global
        .offset:         32
        .size:           8
        .value_kind:     global_buffer
      - .address_space:  global
        .offset:         40
        .size:           8
        .value_kind:     global_buffer
    .group_segment_fixed_size: 5120
    .kernarg_segment_align: 8
    .kernarg_segment_size: 48
    .language:       OpenCL C
    .language_version:
      - 2
      - 0
    .max_flat_workgroup_size: 128
    .name:           _ZN9rocsparseL44gtsv_nopivot_strided_batch_pcr_shared_kernelILj128EdEEviiiPKT0_S3_S3_PS1_
    .private_segment_fixed_size: 0
    .sgpr_count:     14
    .sgpr_spill_count: 0
    .symbol:         _ZN9rocsparseL44gtsv_nopivot_strided_batch_pcr_shared_kernelILj128EdEEviiiPKT0_S3_S3_PS1_.kd
    .uniform_work_group_size: 1
    .uses_dynamic_stack: false
    .vgpr_count:     38
    .vgpr_spill_count: 0
    .wavefront_size: 64
  - .agpr_count:     0
    .args:
      - .offset:         0
        .size:           4
        .value_kind:     by_value
      - .offset:         4
        .size:           4
        .value_kind:     by_value
      - .offset:         8
        .size:           4
        .value_kind:     by_value
      - .actual_access:  read_only
        .address_space:  global
        .offset:         16
        .size:           8
        .value_kind:     global_buffer
      - .actual_access:  read_only
        .address_space:  global
        .offset:         24
        .size:           8
        .value_kind:     global_buffer
      - .actual_access:  read_only
        .address_space:  global
        .offset:         32
        .size:           8
        .value_kind:     global_buffer
      - .address_space:  global
        .offset:         40
        .size:           8
        .value_kind:     global_buffer
    .group_segment_fixed_size: 10240
    .kernarg_segment_align: 8
    .kernarg_segment_size: 48
    .language:       OpenCL C
    .language_version:
      - 2
      - 0
    .max_flat_workgroup_size: 256
    .name:           _ZN9rocsparseL44gtsv_nopivot_strided_batch_pcr_shared_kernelILj256EdEEviiiPKT0_S3_S3_PS1_
    .private_segment_fixed_size: 0
    .sgpr_count:     14
    .sgpr_spill_count: 0
    .symbol:         _ZN9rocsparseL44gtsv_nopivot_strided_batch_pcr_shared_kernelILj256EdEEviiiPKT0_S3_S3_PS1_.kd
    .uniform_work_group_size: 1
    .uses_dynamic_stack: false
    .vgpr_count:     38
    .vgpr_spill_count: 0
    .wavefront_size: 64
  - .agpr_count:     0
    .args:
      - .offset:         0
        .size:           4
        .value_kind:     by_value
      - .offset:         4
        .size:           4
        .value_kind:     by_value
      - .offset:         8
        .size:           4
        .value_kind:     by_value
      - .actual_access:  read_only
        .address_space:  global
        .offset:         16
        .size:           8
        .value_kind:     global_buffer
      - .actual_access:  read_only
        .address_space:  global
        .offset:         24
        .size:           8
        .value_kind:     global_buffer
      - .actual_access:  read_only
        .address_space:  global
        .offset:         32
        .size:           8
        .value_kind:     global_buffer
      - .address_space:  global
        .offset:         40
        .size:           8
        .value_kind:     global_buffer
    .group_segment_fixed_size: 20480
    .kernarg_segment_align: 8
    .kernarg_segment_size: 48
    .language:       OpenCL C
    .language_version:
      - 2
      - 0
    .max_flat_workgroup_size: 512
    .name:           _ZN9rocsparseL44gtsv_nopivot_strided_batch_pcr_shared_kernelILj512EdEEviiiPKT0_S3_S3_PS1_
    .private_segment_fixed_size: 0
    .sgpr_count:     14
    .sgpr_spill_count: 0
    .symbol:         _ZN9rocsparseL44gtsv_nopivot_strided_batch_pcr_shared_kernelILj512EdEEviiiPKT0_S3_S3_PS1_.kd
    .uniform_work_group_size: 1
    .uses_dynamic_stack: false
    .vgpr_count:     38
    .vgpr_spill_count: 0
    .wavefront_size: 64
  - .agpr_count:     0
    .args:
      - .offset:         0
        .size:           4
        .value_kind:     by_value
      - .offset:         4
        .size:           4
        .value_kind:     by_value
      - .offset:         8
        .size:           4
        .value_kind:     by_value
      - .offset:         12
        .size:           4
        .value_kind:     by_value
      - .actual_access:  read_only
        .address_space:  global
        .offset:         16
        .size:           8
        .value_kind:     global_buffer
      - .actual_access:  read_only
        .address_space:  global
        .offset:         24
        .size:           8
        .value_kind:     global_buffer
      - .actual_access:  read_only
        .address_space:  global
        .offset:         32
        .size:           8
        .value_kind:     global_buffer
      - .actual_access:  read_only
        .address_space:  global
        .offset:         40
        .size:           8
        .value_kind:     global_buffer
      - .actual_access:  write_only
        .address_space:  global
        .offset:         48
        .size:           8
        .value_kind:     global_buffer
      - .actual_access:  write_only
        .address_space:  global
        .offset:         56
        .size:           8
        .value_kind:     global_buffer
      - .actual_access:  write_only
        .address_space:  global
        .offset:         64
        .size:           8
        .value_kind:     global_buffer
      - .actual_access:  write_only
        .address_space:  global
        .offset:         72
        .size:           8
        .value_kind:     global_buffer
    .group_segment_fixed_size: 0
    .kernarg_segment_align: 8
    .kernarg_segment_size: 80
    .language:       OpenCL C
    .language_version:
      - 2
      - 0
    .max_flat_workgroup_size: 256
    .name:           _ZN9rocsparseL49gtsv_nopivot_strided_batch_pcr_pow2_stage1_kernelILj256EdEEviiiiPKT0_S3_S3_S3_PS1_S4_S4_S4_
    .private_segment_fixed_size: 0
    .sgpr_count:     31
    .sgpr_spill_count: 0
    .symbol:         _ZN9rocsparseL49gtsv_nopivot_strided_batch_pcr_pow2_stage1_kernelILj256EdEEviiiiPKT0_S3_S3_S3_PS1_S4_S4_S4_.kd
    .uniform_work_group_size: 1
    .uses_dynamic_stack: false
    .vgpr_count:     36
    .vgpr_spill_count: 0
    .wavefront_size: 64
  - .agpr_count:     0
    .args:
      - .offset:         0
        .size:           4
        .value_kind:     by_value
      - .offset:         4
        .size:           4
        .value_kind:     by_value
      - .offset:         8
        .size:           4
        .value_kind:     by_value
      - .actual_access:  read_only
        .address_space:  global
        .offset:         16
        .size:           8
        .value_kind:     global_buffer
      - .actual_access:  read_only
        .address_space:  global
        .offset:         24
        .size:           8
        .value_kind:     global_buffer
      - .actual_access:  read_only
        .address_space:  global
        .offset:         32
        .size:           8
        .value_kind:     global_buffer
      - .actual_access:  read_only
        .address_space:  global
        .offset:         40
        .size:           8
        .value_kind:     global_buffer
      - .actual_access:  write_only
        .address_space:  global
        .offset:         48
        .size:           8
        .value_kind:     global_buffer
      - .offset:         56
        .size:           4
        .value_kind:     hidden_block_count_x
      - .offset:         60
        .size:           4
        .value_kind:     hidden_block_count_y
      - .offset:         64
        .size:           4
        .value_kind:     hidden_block_count_z
      - .offset:         68
        .size:           2
        .value_kind:     hidden_group_size_x
      - .offset:         70
        .size:           2
        .value_kind:     hidden_group_size_y
      - .offset:         72
        .size:           2
        .value_kind:     hidden_group_size_z
      - .offset:         74
        .size:           2
        .value_kind:     hidden_remainder_x
      - .offset:         76
        .size:           2
        .value_kind:     hidden_remainder_y
      - .offset:         78
        .size:           2
        .value_kind:     hidden_remainder_z
      - .offset:         96
        .size:           8
        .value_kind:     hidden_global_offset_x
      - .offset:         104
        .size:           8
        .value_kind:     hidden_global_offset_y
      - .offset:         112
        .size:           8
        .value_kind:     hidden_global_offset_z
      - .offset:         120
        .size:           2
        .value_kind:     hidden_grid_dims
    .group_segment_fixed_size: 20480
    .kernarg_segment_align: 8
    .kernarg_segment_size: 312
    .language:       OpenCL C
    .language_version:
      - 2
      - 0
    .max_flat_workgroup_size: 256
    .name:           _ZN9rocsparseL48gtsv_nopivot_strided_batch_cr_pow2_stage2_kernelILj256EdEEviiiPKT0_S3_S3_S3_PS1_
    .private_segment_fixed_size: 0
    .sgpr_count:     30
    .sgpr_spill_count: 0
    .symbol:         _ZN9rocsparseL48gtsv_nopivot_strided_batch_cr_pow2_stage2_kernelILj256EdEEviiiPKT0_S3_S3_S3_PS1_.kd
    .uniform_work_group_size: 1
    .uses_dynamic_stack: false
    .vgpr_count:     38
    .vgpr_spill_count: 0
    .wavefront_size: 64
  - .agpr_count:     0
    .args:
      - .offset:         0
        .size:           4
        .value_kind:     by_value
      - .offset:         4
        .size:           4
        .value_kind:     by_value
      - .offset:         8
        .size:           4
        .value_kind:     by_value
      - .offset:         12
        .size:           4
        .value_kind:     by_value
      - .actual_access:  read_only
        .address_space:  global
        .offset:         16
        .size:           8
        .value_kind:     global_buffer
      - .actual_access:  read_only
        .address_space:  global
        .offset:         24
        .size:           8
        .value_kind:     global_buffer
      - .actual_access:  read_only
        .address_space:  global
        .offset:         32
        .size:           8
        .value_kind:     global_buffer
      - .actual_access:  read_only
        .address_space:  global
        .offset:         40
        .size:           8
        .value_kind:     global_buffer
      - .actual_access:  write_only
        .address_space:  global
        .offset:         48
        .size:           8
        .value_kind:     global_buffer
      - .actual_access:  write_only
        .address_space:  global
        .offset:         56
        .size:           8
        .value_kind:     global_buffer
      - .actual_access:  write_only
        .address_space:  global
        .offset:         64
        .size:           8
        .value_kind:     global_buffer
      - .actual_access:  write_only
        .address_space:  global
        .offset:         72
        .size:           8
        .value_kind:     global_buffer
    .group_segment_fixed_size: 0
    .kernarg_segment_align: 8
    .kernarg_segment_size: 80
    .language:       OpenCL C
    .language_version:
      - 2
      - 0
    .max_flat_workgroup_size: 256
    .name:           _ZN9rocsparseL44gtsv_nopivot_strided_batch_pcr_stage1_kernelILj256EdEEviiiiPKT0_S3_S3_S3_PS1_S4_S4_S4_
    .private_segment_fixed_size: 0
    .sgpr_count:     30
    .sgpr_spill_count: 0
    .symbol:         _ZN9rocsparseL44gtsv_nopivot_strided_batch_pcr_stage1_kernelILj256EdEEviiiiPKT0_S3_S3_S3_PS1_S4_S4_S4_.kd
    .uniform_work_group_size: 1
    .uses_dynamic_stack: false
    .vgpr_count:     36
    .vgpr_spill_count: 0
    .wavefront_size: 64
  - .agpr_count:     0
    .args:
      - .offset:         0
        .size:           4
        .value_kind:     by_value
      - .offset:         4
        .size:           4
        .value_kind:     by_value
      - .offset:         8
        .size:           4
        .value_kind:     by_value
      - .actual_access:  read_only
        .address_space:  global
        .offset:         16
        .size:           8
        .value_kind:     global_buffer
      - .actual_access:  read_only
        .address_space:  global
        .offset:         24
        .size:           8
        .value_kind:     global_buffer
      - .actual_access:  read_only
        .address_space:  global
        .offset:         32
        .size:           8
        .value_kind:     global_buffer
      - .actual_access:  read_only
        .address_space:  global
        .offset:         40
        .size:           8
        .value_kind:     global_buffer
      - .actual_access:  write_only
        .address_space:  global
        .offset:         48
        .size:           8
        .value_kind:     global_buffer
      - .offset:         56
        .size:           4
        .value_kind:     hidden_block_count_x
      - .offset:         60
        .size:           4
        .value_kind:     hidden_block_count_y
      - .offset:         64
        .size:           4
        .value_kind:     hidden_block_count_z
      - .offset:         68
        .size:           2
        .value_kind:     hidden_group_size_x
      - .offset:         70
        .size:           2
        .value_kind:     hidden_group_size_y
      - .offset:         72
        .size:           2
        .value_kind:     hidden_group_size_z
      - .offset:         74
        .size:           2
        .value_kind:     hidden_remainder_x
      - .offset:         76
        .size:           2
        .value_kind:     hidden_remainder_y
      - .offset:         78
        .size:           2
        .value_kind:     hidden_remainder_z
      - .offset:         96
        .size:           8
        .value_kind:     hidden_global_offset_x
      - .offset:         104
        .size:           8
        .value_kind:     hidden_global_offset_y
      - .offset:         112
        .size:           8
        .value_kind:     hidden_global_offset_z
      - .offset:         120
        .size:           2
        .value_kind:     hidden_grid_dims
    .group_segment_fixed_size: 20480
    .kernarg_segment_align: 8
    .kernarg_segment_size: 312
    .language:       OpenCL C
    .language_version:
      - 2
      - 0
    .max_flat_workgroup_size: 512
    .name:           _ZN9rocsparseL44gtsv_nopivot_strided_batch_pcr_stage2_kernelILj512EdEEviiiPKT0_S3_S3_S3_PS1_
    .private_segment_fixed_size: 0
    .sgpr_count:     20
    .sgpr_spill_count: 0
    .symbol:         _ZN9rocsparseL44gtsv_nopivot_strided_batch_pcr_stage2_kernelILj512EdEEviiiPKT0_S3_S3_S3_PS1_.kd
    .uniform_work_group_size: 1
    .uses_dynamic_stack: false
    .vgpr_count:     48
    .vgpr_spill_count: 0
    .wavefront_size: 64
  - .agpr_count:     0
    .args:
      - .offset:         0
        .size:           4
        .value_kind:     by_value
      - .offset:         4
        .size:           4
        .value_kind:     by_value
      - .offset:         8
        .size:           4
        .value_kind:     by_value
      - .actual_access:  read_only
        .address_space:  global
        .offset:         16
        .size:           8
        .value_kind:     global_buffer
      - .actual_access:  read_only
        .address_space:  global
        .offset:         24
        .size:           8
        .value_kind:     global_buffer
      - .actual_access:  read_only
        .address_space:  global
        .offset:         32
        .size:           8
        .value_kind:     global_buffer
      - .address_space:  global
        .offset:         40
        .size:           8
        .value_kind:     global_buffer
    .group_segment_fixed_size: 152
    .kernarg_segment_align: 8
    .kernarg_segment_size: 48
    .language:       OpenCL C
    .language_version:
      - 2
      - 0
    .max_flat_workgroup_size: 2
    .name:           _ZN9rocsparseL49gtsv_nopivot_strided_batch_pcr_pow2_shared_kernelILj2E21rocsparse_complex_numIfEEEviiiPKT0_S5_S5_PS3_
    .private_segment_fixed_size: 0
    .sgpr_count:     20
    .sgpr_spill_count: 0
    .symbol:         _ZN9rocsparseL49gtsv_nopivot_strided_batch_pcr_pow2_shared_kernelILj2E21rocsparse_complex_numIfEEEviiiPKT0_S5_S5_PS3_.kd
    .uniform_work_group_size: 1
    .uses_dynamic_stack: false
    .vgpr_count:     28
    .vgpr_spill_count: 0
    .wavefront_size: 64
  - .agpr_count:     0
    .args:
      - .offset:         0
        .size:           4
        .value_kind:     by_value
      - .offset:         4
        .size:           4
        .value_kind:     by_value
      - .offset:         8
        .size:           4
        .value_kind:     by_value
      - .actual_access:  read_only
        .address_space:  global
        .offset:         16
        .size:           8
        .value_kind:     global_buffer
      - .actual_access:  read_only
        .address_space:  global
        .offset:         24
        .size:           8
        .value_kind:     global_buffer
      - .actual_access:  read_only
        .address_space:  global
        .offset:         32
        .size:           8
        .value_kind:     global_buffer
      - .address_space:  global
        .offset:         40
        .size:           8
        .value_kind:     global_buffer
    .group_segment_fixed_size: 232
    .kernarg_segment_align: 8
    .kernarg_segment_size: 48
    .language:       OpenCL C
    .language_version:
      - 2
      - 0
    .max_flat_workgroup_size: 4
    .name:           _ZN9rocsparseL49gtsv_nopivot_strided_batch_pcr_pow2_shared_kernelILj4E21rocsparse_complex_numIfEEEviiiPKT0_S5_S5_PS3_
    .private_segment_fixed_size: 0
    .sgpr_count:     20
    .sgpr_spill_count: 0
    .symbol:         _ZN9rocsparseL49gtsv_nopivot_strided_batch_pcr_pow2_shared_kernelILj4E21rocsparse_complex_numIfEEEviiiPKT0_S5_S5_PS3_.kd
    .uniform_work_group_size: 1
    .uses_dynamic_stack: false
    .vgpr_count:     36
    .vgpr_spill_count: 0
    .wavefront_size: 64
  - .agpr_count:     0
    .args:
      - .offset:         0
        .size:           4
        .value_kind:     by_value
      - .offset:         4
        .size:           4
        .value_kind:     by_value
      - .offset:         8
        .size:           4
        .value_kind:     by_value
      - .actual_access:  read_only
        .address_space:  global
        .offset:         16
        .size:           8
        .value_kind:     global_buffer
      - .actual_access:  read_only
        .address_space:  global
        .offset:         24
        .size:           8
        .value_kind:     global_buffer
      - .actual_access:  read_only
        .address_space:  global
        .offset:         32
        .size:           8
        .value_kind:     global_buffer
      - .address_space:  global
        .offset:         40
        .size:           8
        .value_kind:     global_buffer
    .group_segment_fixed_size: 392
    .kernarg_segment_align: 8
    .kernarg_segment_size: 48
    .language:       OpenCL C
    .language_version:
      - 2
      - 0
    .max_flat_workgroup_size: 8
    .name:           _ZN9rocsparseL49gtsv_nopivot_strided_batch_pcr_pow2_shared_kernelILj8E21rocsparse_complex_numIfEEEviiiPKT0_S5_S5_PS3_
    .private_segment_fixed_size: 0
    .sgpr_count:     20
    .sgpr_spill_count: 0
    .symbol:         _ZN9rocsparseL49gtsv_nopivot_strided_batch_pcr_pow2_shared_kernelILj8E21rocsparse_complex_numIfEEEviiiPKT0_S5_S5_PS3_.kd
    .uniform_work_group_size: 1
    .uses_dynamic_stack: false
    .vgpr_count:     37
    .vgpr_spill_count: 0
    .wavefront_size: 64
  - .agpr_count:     0
    .args:
      - .offset:         0
        .size:           4
        .value_kind:     by_value
      - .offset:         4
        .size:           4
        .value_kind:     by_value
      - .offset:         8
        .size:           4
        .value_kind:     by_value
      - .actual_access:  read_only
        .address_space:  global
        .offset:         16
        .size:           8
        .value_kind:     global_buffer
      - .actual_access:  read_only
        .address_space:  global
        .offset:         24
        .size:           8
        .value_kind:     global_buffer
      - .actual_access:  read_only
        .address_space:  global
        .offset:         32
        .size:           8
        .value_kind:     global_buffer
      - .address_space:  global
        .offset:         40
        .size:           8
        .value_kind:     global_buffer
    .group_segment_fixed_size: 712
    .kernarg_segment_align: 8
    .kernarg_segment_size: 48
    .language:       OpenCL C
    .language_version:
      - 2
      - 0
    .max_flat_workgroup_size: 16
    .name:           _ZN9rocsparseL49gtsv_nopivot_strided_batch_pcr_pow2_shared_kernelILj16E21rocsparse_complex_numIfEEEviiiPKT0_S5_S5_PS3_
    .private_segment_fixed_size: 0
    .sgpr_count:     20
    .sgpr_spill_count: 0
    .symbol:         _ZN9rocsparseL49gtsv_nopivot_strided_batch_pcr_pow2_shared_kernelILj16E21rocsparse_complex_numIfEEEviiiPKT0_S5_S5_PS3_.kd
    .uniform_work_group_size: 1
    .uses_dynamic_stack: false
    .vgpr_count:     37
    .vgpr_spill_count: 0
    .wavefront_size: 64
  - .agpr_count:     0
    .args:
      - .offset:         0
        .size:           4
        .value_kind:     by_value
      - .offset:         4
        .size:           4
        .value_kind:     by_value
      - .offset:         8
        .size:           4
        .value_kind:     by_value
      - .actual_access:  read_only
        .address_space:  global
        .offset:         16
        .size:           8
        .value_kind:     global_buffer
      - .actual_access:  read_only
        .address_space:  global
        .offset:         24
        .size:           8
        .value_kind:     global_buffer
      - .actual_access:  read_only
        .address_space:  global
        .offset:         32
        .size:           8
        .value_kind:     global_buffer
      - .address_space:  global
        .offset:         40
        .size:           8
        .value_kind:     global_buffer
    .group_segment_fixed_size: 1352
    .kernarg_segment_align: 8
    .kernarg_segment_size: 48
    .language:       OpenCL C
    .language_version:
      - 2
      - 0
    .max_flat_workgroup_size: 32
    .name:           _ZN9rocsparseL49gtsv_nopivot_strided_batch_pcr_pow2_shared_kernelILj32E21rocsparse_complex_numIfEEEviiiPKT0_S5_S5_PS3_
    .private_segment_fixed_size: 0
    .sgpr_count:     20
    .sgpr_spill_count: 0
    .symbol:         _ZN9rocsparseL49gtsv_nopivot_strided_batch_pcr_pow2_shared_kernelILj32E21rocsparse_complex_numIfEEEviiiPKT0_S5_S5_PS3_.kd
    .uniform_work_group_size: 1
    .uses_dynamic_stack: false
    .vgpr_count:     37
    .vgpr_spill_count: 0
    .wavefront_size: 64
  - .agpr_count:     0
    .args:
      - .offset:         0
        .size:           4
        .value_kind:     by_value
      - .offset:         4
        .size:           4
        .value_kind:     by_value
      - .offset:         8
        .size:           4
        .value_kind:     by_value
      - .actual_access:  read_only
        .address_space:  global
        .offset:         16
        .size:           8
        .value_kind:     global_buffer
      - .actual_access:  read_only
        .address_space:  global
        .offset:         24
        .size:           8
        .value_kind:     global_buffer
      - .actual_access:  read_only
        .address_space:  global
        .offset:         32
        .size:           8
        .value_kind:     global_buffer
      - .address_space:  global
        .offset:         40
        .size:           8
        .value_kind:     global_buffer
    .group_segment_fixed_size: 2632
    .kernarg_segment_align: 8
    .kernarg_segment_size: 48
    .language:       OpenCL C
    .language_version:
      - 2
      - 0
    .max_flat_workgroup_size: 64
    .name:           _ZN9rocsparseL49gtsv_nopivot_strided_batch_pcr_pow2_shared_kernelILj64E21rocsparse_complex_numIfEEEviiiPKT0_S5_S5_PS3_
    .private_segment_fixed_size: 0
    .sgpr_count:     20
    .sgpr_spill_count: 0
    .symbol:         _ZN9rocsparseL49gtsv_nopivot_strided_batch_pcr_pow2_shared_kernelILj64E21rocsparse_complex_numIfEEEviiiPKT0_S5_S5_PS3_.kd
    .uniform_work_group_size: 1
    .uses_dynamic_stack: false
    .vgpr_count:     37
    .vgpr_spill_count: 0
    .wavefront_size: 64
  - .agpr_count:     0
    .args:
      - .offset:         0
        .size:           4
        .value_kind:     by_value
      - .offset:         4
        .size:           4
        .value_kind:     by_value
      - .offset:         8
        .size:           4
        .value_kind:     by_value
      - .actual_access:  read_only
        .address_space:  global
        .offset:         16
        .size:           8
        .value_kind:     global_buffer
      - .actual_access:  read_only
        .address_space:  global
        .offset:         24
        .size:           8
        .value_kind:     global_buffer
      - .actual_access:  read_only
        .address_space:  global
        .offset:         32
        .size:           8
        .value_kind:     global_buffer
      - .address_space:  global
        .offset:         40
        .size:           8
        .value_kind:     global_buffer
    .group_segment_fixed_size: 7680
    .kernarg_segment_align: 8
    .kernarg_segment_size: 48
    .language:       OpenCL C
    .language_version:
      - 2
      - 0
    .max_flat_workgroup_size: 64
    .name:           _ZN9rocsparseL51gtsv_nopivot_strided_batch_crpcr_pow2_shared_kernelILj64ELj64E21rocsparse_complex_numIfEEEviiiPKT1_S5_S5_PS3_
    .private_segment_fixed_size: 0
    .sgpr_count:     20
    .sgpr_spill_count: 0
    .symbol:         _ZN9rocsparseL51gtsv_nopivot_strided_batch_crpcr_pow2_shared_kernelILj64ELj64E21rocsparse_complex_numIfEEEviiiPKT1_S5_S5_PS3_.kd
    .uniform_work_group_size: 1
    .uses_dynamic_stack: false
    .vgpr_count:     36
    .vgpr_spill_count: 0
    .wavefront_size: 64
  - .agpr_count:     0
    .args:
      - .offset:         0
        .size:           4
        .value_kind:     by_value
      - .offset:         4
        .size:           4
        .value_kind:     by_value
      - .offset:         8
        .size:           4
        .value_kind:     by_value
      - .actual_access:  read_only
        .address_space:  global
        .offset:         16
        .size:           8
        .value_kind:     global_buffer
      - .actual_access:  read_only
        .address_space:  global
        .offset:         24
        .size:           8
        .value_kind:     global_buffer
      - .actual_access:  read_only
        .address_space:  global
        .offset:         32
        .size:           8
        .value_kind:     global_buffer
      - .address_space:  global
        .offset:         40
        .size:           8
        .value_kind:     global_buffer
    .group_segment_fixed_size: 12800
    .kernarg_segment_align: 8
    .kernarg_segment_size: 48
    .language:       OpenCL C
    .language_version:
      - 2
      - 0
    .max_flat_workgroup_size: 128
    .name:           _ZN9rocsparseL51gtsv_nopivot_strided_batch_crpcr_pow2_shared_kernelILj128ELj64E21rocsparse_complex_numIfEEEviiiPKT1_S5_S5_PS3_
    .private_segment_fixed_size: 0
    .sgpr_count:     20
    .sgpr_spill_count: 0
    .symbol:         _ZN9rocsparseL51gtsv_nopivot_strided_batch_crpcr_pow2_shared_kernelILj128ELj64E21rocsparse_complex_numIfEEEviiiPKT1_S5_S5_PS3_.kd
    .uniform_work_group_size: 1
    .uses_dynamic_stack: false
    .vgpr_count:     36
    .vgpr_spill_count: 0
    .wavefront_size: 64
  - .agpr_count:     0
    .args:
      - .offset:         0
        .size:           4
        .value_kind:     by_value
      - .offset:         4
        .size:           4
        .value_kind:     by_value
      - .offset:         8
        .size:           4
        .value_kind:     by_value
      - .actual_access:  read_only
        .address_space:  global
        .offset:         16
        .size:           8
        .value_kind:     global_buffer
      - .actual_access:  read_only
        .address_space:  global
        .offset:         24
        .size:           8
        .value_kind:     global_buffer
      - .actual_access:  read_only
        .address_space:  global
        .offset:         32
        .size:           8
        .value_kind:     global_buffer
      - .address_space:  global
        .offset:         40
        .size:           8
        .value_kind:     global_buffer
    .group_segment_fixed_size: 23040
    .kernarg_segment_align: 8
    .kernarg_segment_size: 48
    .language:       OpenCL C
    .language_version:
      - 2
      - 0
    .max_flat_workgroup_size: 256
    .name:           _ZN9rocsparseL51gtsv_nopivot_strided_batch_crpcr_pow2_shared_kernelILj256ELj64E21rocsparse_complex_numIfEEEviiiPKT1_S5_S5_PS3_
    .private_segment_fixed_size: 0
    .sgpr_count:     20
    .sgpr_spill_count: 0
    .symbol:         _ZN9rocsparseL51gtsv_nopivot_strided_batch_crpcr_pow2_shared_kernelILj256ELj64E21rocsparse_complex_numIfEEEviiiPKT1_S5_S5_PS3_.kd
    .uniform_work_group_size: 1
    .uses_dynamic_stack: false
    .vgpr_count:     36
    .vgpr_spill_count: 0
    .wavefront_size: 64
  - .agpr_count:     0
    .args:
      - .offset:         0
        .size:           4
        .value_kind:     by_value
      - .offset:         4
        .size:           4
        .value_kind:     by_value
      - .offset:         8
        .size:           4
        .value_kind:     by_value
      - .actual_access:  read_only
        .address_space:  global
        .offset:         16
        .size:           8
        .value_kind:     global_buffer
      - .actual_access:  read_only
        .address_space:  global
        .offset:         24
        .size:           8
        .value_kind:     global_buffer
      - .actual_access:  read_only
        .address_space:  global
        .offset:         32
        .size:           8
        .value_kind:     global_buffer
      - .address_space:  global
        .offset:         40
        .size:           8
        .value_kind:     global_buffer
    .group_segment_fixed_size: 160
    .kernarg_segment_align: 8
    .kernarg_segment_size: 48
    .language:       OpenCL C
    .language_version:
      - 2
      - 0
    .max_flat_workgroup_size: 4
    .name:           _ZN9rocsparseL44gtsv_nopivot_strided_batch_pcr_shared_kernelILj4E21rocsparse_complex_numIfEEEviiiPKT0_S5_S5_PS3_
    .private_segment_fixed_size: 0
    .sgpr_count:     14
    .sgpr_spill_count: 0
    .symbol:         _ZN9rocsparseL44gtsv_nopivot_strided_batch_pcr_shared_kernelILj4E21rocsparse_complex_numIfEEEviiiPKT0_S5_S5_PS3_.kd
    .uniform_work_group_size: 1
    .uses_dynamic_stack: false
    .vgpr_count:     32
    .vgpr_spill_count: 0
    .wavefront_size: 64
  - .agpr_count:     0
    .args:
      - .offset:         0
        .size:           4
        .value_kind:     by_value
      - .offset:         4
        .size:           4
        .value_kind:     by_value
      - .offset:         8
        .size:           4
        .value_kind:     by_value
      - .actual_access:  read_only
        .address_space:  global
        .offset:         16
        .size:           8
        .value_kind:     global_buffer
      - .actual_access:  read_only
        .address_space:  global
        .offset:         24
        .size:           8
        .value_kind:     global_buffer
      - .actual_access:  read_only
        .address_space:  global
        .offset:         32
        .size:           8
        .value_kind:     global_buffer
      - .address_space:  global
        .offset:         40
        .size:           8
        .value_kind:     global_buffer
    .group_segment_fixed_size: 320
    .kernarg_segment_align: 8
    .kernarg_segment_size: 48
    .language:       OpenCL C
    .language_version:
      - 2
      - 0
    .max_flat_workgroup_size: 8
    .name:           _ZN9rocsparseL44gtsv_nopivot_strided_batch_pcr_shared_kernelILj8E21rocsparse_complex_numIfEEEviiiPKT0_S5_S5_PS3_
    .private_segment_fixed_size: 0
    .sgpr_count:     14
    .sgpr_spill_count: 0
    .symbol:         _ZN9rocsparseL44gtsv_nopivot_strided_batch_pcr_shared_kernelILj8E21rocsparse_complex_numIfEEEviiiPKT0_S5_S5_PS3_.kd
    .uniform_work_group_size: 1
    .uses_dynamic_stack: false
    .vgpr_count:     32
    .vgpr_spill_count: 0
    .wavefront_size: 64
  - .agpr_count:     0
    .args:
      - .offset:         0
        .size:           4
        .value_kind:     by_value
      - .offset:         4
        .size:           4
        .value_kind:     by_value
      - .offset:         8
        .size:           4
        .value_kind:     by_value
      - .actual_access:  read_only
        .address_space:  global
        .offset:         16
        .size:           8
        .value_kind:     global_buffer
      - .actual_access:  read_only
        .address_space:  global
        .offset:         24
        .size:           8
        .value_kind:     global_buffer
      - .actual_access:  read_only
        .address_space:  global
        .offset:         32
        .size:           8
        .value_kind:     global_buffer
      - .address_space:  global
        .offset:         40
        .size:           8
        .value_kind:     global_buffer
    .group_segment_fixed_size: 640
    .kernarg_segment_align: 8
    .kernarg_segment_size: 48
    .language:       OpenCL C
    .language_version:
      - 2
      - 0
    .max_flat_workgroup_size: 16
    .name:           _ZN9rocsparseL44gtsv_nopivot_strided_batch_pcr_shared_kernelILj16E21rocsparse_complex_numIfEEEviiiPKT0_S5_S5_PS3_
    .private_segment_fixed_size: 0
    .sgpr_count:     14
    .sgpr_spill_count: 0
    .symbol:         _ZN9rocsparseL44gtsv_nopivot_strided_batch_pcr_shared_kernelILj16E21rocsparse_complex_numIfEEEviiiPKT0_S5_S5_PS3_.kd
    .uniform_work_group_size: 1
    .uses_dynamic_stack: false
    .vgpr_count:     32
    .vgpr_spill_count: 0
    .wavefront_size: 64
  - .agpr_count:     0
    .args:
      - .offset:         0
        .size:           4
        .value_kind:     by_value
      - .offset:         4
        .size:           4
        .value_kind:     by_value
      - .offset:         8
        .size:           4
        .value_kind:     by_value
      - .actual_access:  read_only
        .address_space:  global
        .offset:         16
        .size:           8
        .value_kind:     global_buffer
      - .actual_access:  read_only
        .address_space:  global
        .offset:         24
        .size:           8
        .value_kind:     global_buffer
      - .actual_access:  read_only
        .address_space:  global
        .offset:         32
        .size:           8
        .value_kind:     global_buffer
      - .address_space:  global
        .offset:         40
        .size:           8
        .value_kind:     global_buffer
    .group_segment_fixed_size: 1280
    .kernarg_segment_align: 8
    .kernarg_segment_size: 48
    .language:       OpenCL C
    .language_version:
      - 2
      - 0
    .max_flat_workgroup_size: 32
    .name:           _ZN9rocsparseL44gtsv_nopivot_strided_batch_pcr_shared_kernelILj32E21rocsparse_complex_numIfEEEviiiPKT0_S5_S5_PS3_
    .private_segment_fixed_size: 0
    .sgpr_count:     14
    .sgpr_spill_count: 0
    .symbol:         _ZN9rocsparseL44gtsv_nopivot_strided_batch_pcr_shared_kernelILj32E21rocsparse_complex_numIfEEEviiiPKT0_S5_S5_PS3_.kd
    .uniform_work_group_size: 1
    .uses_dynamic_stack: false
    .vgpr_count:     32
    .vgpr_spill_count: 0
    .wavefront_size: 64
  - .agpr_count:     0
    .args:
      - .offset:         0
        .size:           4
        .value_kind:     by_value
      - .offset:         4
        .size:           4
        .value_kind:     by_value
      - .offset:         8
        .size:           4
        .value_kind:     by_value
      - .actual_access:  read_only
        .address_space:  global
        .offset:         16
        .size:           8
        .value_kind:     global_buffer
      - .actual_access:  read_only
        .address_space:  global
        .offset:         24
        .size:           8
        .value_kind:     global_buffer
      - .actual_access:  read_only
        .address_space:  global
        .offset:         32
        .size:           8
        .value_kind:     global_buffer
      - .address_space:  global
        .offset:         40
        .size:           8
        .value_kind:     global_buffer
    .group_segment_fixed_size: 2560
    .kernarg_segment_align: 8
    .kernarg_segment_size: 48
    .language:       OpenCL C
    .language_version:
      - 2
      - 0
    .max_flat_workgroup_size: 64
    .name:           _ZN9rocsparseL44gtsv_nopivot_strided_batch_pcr_shared_kernelILj64E21rocsparse_complex_numIfEEEviiiPKT0_S5_S5_PS3_
    .private_segment_fixed_size: 0
    .sgpr_count:     14
    .sgpr_spill_count: 0
    .symbol:         _ZN9rocsparseL44gtsv_nopivot_strided_batch_pcr_shared_kernelILj64E21rocsparse_complex_numIfEEEviiiPKT0_S5_S5_PS3_.kd
    .uniform_work_group_size: 1
    .uses_dynamic_stack: false
    .vgpr_count:     34
    .vgpr_spill_count: 0
    .wavefront_size: 64
  - .agpr_count:     0
    .args:
      - .offset:         0
        .size:           4
        .value_kind:     by_value
      - .offset:         4
        .size:           4
        .value_kind:     by_value
      - .offset:         8
        .size:           4
        .value_kind:     by_value
      - .actual_access:  read_only
        .address_space:  global
        .offset:         16
        .size:           8
        .value_kind:     global_buffer
      - .actual_access:  read_only
        .address_space:  global
        .offset:         24
        .size:           8
        .value_kind:     global_buffer
      - .actual_access:  read_only
        .address_space:  global
        .offset:         32
        .size:           8
        .value_kind:     global_buffer
      - .address_space:  global
        .offset:         40
        .size:           8
        .value_kind:     global_buffer
    .group_segment_fixed_size: 5120
    .kernarg_segment_align: 8
    .kernarg_segment_size: 48
    .language:       OpenCL C
    .language_version:
      - 2
      - 0
    .max_flat_workgroup_size: 128
    .name:           _ZN9rocsparseL44gtsv_nopivot_strided_batch_pcr_shared_kernelILj128E21rocsparse_complex_numIfEEEviiiPKT0_S5_S5_PS3_
    .private_segment_fixed_size: 0
    .sgpr_count:     14
    .sgpr_spill_count: 0
    .symbol:         _ZN9rocsparseL44gtsv_nopivot_strided_batch_pcr_shared_kernelILj128E21rocsparse_complex_numIfEEEviiiPKT0_S5_S5_PS3_.kd
    .uniform_work_group_size: 1
    .uses_dynamic_stack: false
    .vgpr_count:     34
    .vgpr_spill_count: 0
    .wavefront_size: 64
  - .agpr_count:     0
    .args:
      - .offset:         0
        .size:           4
        .value_kind:     by_value
      - .offset:         4
        .size:           4
        .value_kind:     by_value
      - .offset:         8
        .size:           4
        .value_kind:     by_value
      - .actual_access:  read_only
        .address_space:  global
        .offset:         16
        .size:           8
        .value_kind:     global_buffer
      - .actual_access:  read_only
        .address_space:  global
        .offset:         24
        .size:           8
        .value_kind:     global_buffer
      - .actual_access:  read_only
        .address_space:  global
        .offset:         32
        .size:           8
        .value_kind:     global_buffer
      - .address_space:  global
        .offset:         40
        .size:           8
        .value_kind:     global_buffer
    .group_segment_fixed_size: 10240
    .kernarg_segment_align: 8
    .kernarg_segment_size: 48
    .language:       OpenCL C
    .language_version:
      - 2
      - 0
    .max_flat_workgroup_size: 256
    .name:           _ZN9rocsparseL44gtsv_nopivot_strided_batch_pcr_shared_kernelILj256E21rocsparse_complex_numIfEEEviiiPKT0_S5_S5_PS3_
    .private_segment_fixed_size: 0
    .sgpr_count:     14
    .sgpr_spill_count: 0
    .symbol:         _ZN9rocsparseL44gtsv_nopivot_strided_batch_pcr_shared_kernelILj256E21rocsparse_complex_numIfEEEviiiPKT0_S5_S5_PS3_.kd
    .uniform_work_group_size: 1
    .uses_dynamic_stack: false
    .vgpr_count:     34
    .vgpr_spill_count: 0
    .wavefront_size: 64
  - .agpr_count:     0
    .args:
      - .offset:         0
        .size:           4
        .value_kind:     by_value
      - .offset:         4
        .size:           4
        .value_kind:     by_value
      - .offset:         8
        .size:           4
        .value_kind:     by_value
      - .actual_access:  read_only
        .address_space:  global
        .offset:         16
        .size:           8
        .value_kind:     global_buffer
      - .actual_access:  read_only
        .address_space:  global
        .offset:         24
        .size:           8
        .value_kind:     global_buffer
      - .actual_access:  read_only
        .address_space:  global
        .offset:         32
        .size:           8
        .value_kind:     global_buffer
      - .address_space:  global
        .offset:         40
        .size:           8
        .value_kind:     global_buffer
    .group_segment_fixed_size: 20480
    .kernarg_segment_align: 8
    .kernarg_segment_size: 48
    .language:       OpenCL C
    .language_version:
      - 2
      - 0
    .max_flat_workgroup_size: 512
    .name:           _ZN9rocsparseL44gtsv_nopivot_strided_batch_pcr_shared_kernelILj512E21rocsparse_complex_numIfEEEviiiPKT0_S5_S5_PS3_
    .private_segment_fixed_size: 0
    .sgpr_count:     14
    .sgpr_spill_count: 0
    .symbol:         _ZN9rocsparseL44gtsv_nopivot_strided_batch_pcr_shared_kernelILj512E21rocsparse_complex_numIfEEEviiiPKT0_S5_S5_PS3_.kd
    .uniform_work_group_size: 1
    .uses_dynamic_stack: false
    .vgpr_count:     34
    .vgpr_spill_count: 0
    .wavefront_size: 64
  - .agpr_count:     0
    .args:
      - .offset:         0
        .size:           4
        .value_kind:     by_value
      - .offset:         4
        .size:           4
        .value_kind:     by_value
      - .offset:         8
        .size:           4
        .value_kind:     by_value
      - .offset:         12
        .size:           4
        .value_kind:     by_value
      - .actual_access:  read_only
        .address_space:  global
        .offset:         16
        .size:           8
        .value_kind:     global_buffer
      - .actual_access:  read_only
        .address_space:  global
        .offset:         24
        .size:           8
        .value_kind:     global_buffer
      - .actual_access:  read_only
        .address_space:  global
        .offset:         32
        .size:           8
        .value_kind:     global_buffer
      - .actual_access:  read_only
        .address_space:  global
        .offset:         40
        .size:           8
        .value_kind:     global_buffer
      - .actual_access:  write_only
        .address_space:  global
        .offset:         48
        .size:           8
        .value_kind:     global_buffer
      - .actual_access:  write_only
        .address_space:  global
        .offset:         56
        .size:           8
        .value_kind:     global_buffer
      - .actual_access:  write_only
        .address_space:  global
        .offset:         64
        .size:           8
        .value_kind:     global_buffer
      - .actual_access:  write_only
        .address_space:  global
        .offset:         72
        .size:           8
        .value_kind:     global_buffer
    .group_segment_fixed_size: 0
    .kernarg_segment_align: 8
    .kernarg_segment_size: 80
    .language:       OpenCL C
    .language_version:
      - 2
      - 0
    .max_flat_workgroup_size: 256
    .name:           _ZN9rocsparseL49gtsv_nopivot_strided_batch_pcr_pow2_stage1_kernelILj256E21rocsparse_complex_numIfEEEviiiiPKT0_S5_S5_S5_PS3_S6_S6_S6_
    .private_segment_fixed_size: 0
    .sgpr_count:     33
    .sgpr_spill_count: 0
    .symbol:         _ZN9rocsparseL49gtsv_nopivot_strided_batch_pcr_pow2_stage1_kernelILj256E21rocsparse_complex_numIfEEEviiiiPKT0_S5_S5_S5_PS3_S6_S6_S6_.kd
    .uniform_work_group_size: 1
    .uses_dynamic_stack: false
    .vgpr_count:     32
    .vgpr_spill_count: 0
    .wavefront_size: 64
  - .agpr_count:     0
    .args:
      - .offset:         0
        .size:           4
        .value_kind:     by_value
      - .offset:         4
        .size:           4
        .value_kind:     by_value
      - .offset:         8
        .size:           4
        .value_kind:     by_value
      - .actual_access:  read_only
        .address_space:  global
        .offset:         16
        .size:           8
        .value_kind:     global_buffer
      - .actual_access:  read_only
        .address_space:  global
        .offset:         24
        .size:           8
        .value_kind:     global_buffer
      - .actual_access:  read_only
        .address_space:  global
        .offset:         32
        .size:           8
        .value_kind:     global_buffer
      - .actual_access:  read_only
        .address_space:  global
        .offset:         40
        .size:           8
        .value_kind:     global_buffer
      - .actual_access:  write_only
        .address_space:  global
        .offset:         48
        .size:           8
        .value_kind:     global_buffer
      - .offset:         56
        .size:           4
        .value_kind:     hidden_block_count_x
      - .offset:         60
        .size:           4
        .value_kind:     hidden_block_count_y
      - .offset:         64
        .size:           4
        .value_kind:     hidden_block_count_z
      - .offset:         68
        .size:           2
        .value_kind:     hidden_group_size_x
      - .offset:         70
        .size:           2
        .value_kind:     hidden_group_size_y
      - .offset:         72
        .size:           2
        .value_kind:     hidden_group_size_z
      - .offset:         74
        .size:           2
        .value_kind:     hidden_remainder_x
      - .offset:         76
        .size:           2
        .value_kind:     hidden_remainder_y
      - .offset:         78
        .size:           2
        .value_kind:     hidden_remainder_z
      - .offset:         96
        .size:           8
        .value_kind:     hidden_global_offset_x
      - .offset:         104
        .size:           8
        .value_kind:     hidden_global_offset_y
      - .offset:         112
        .size:           8
        .value_kind:     hidden_global_offset_z
      - .offset:         120
        .size:           2
        .value_kind:     hidden_grid_dims
    .group_segment_fixed_size: 20480
    .kernarg_segment_align: 8
    .kernarg_segment_size: 312
    .language:       OpenCL C
    .language_version:
      - 2
      - 0
    .max_flat_workgroup_size: 256
    .name:           _ZN9rocsparseL48gtsv_nopivot_strided_batch_cr_pow2_stage2_kernelILj256E21rocsparse_complex_numIfEEEviiiPKT0_S5_S5_S5_PS3_
    .private_segment_fixed_size: 0
    .sgpr_count:     32
    .sgpr_spill_count: 0
    .symbol:         _ZN9rocsparseL48gtsv_nopivot_strided_batch_cr_pow2_stage2_kernelILj256E21rocsparse_complex_numIfEEEviiiPKT0_S5_S5_S5_PS3_.kd
    .uniform_work_group_size: 1
    .uses_dynamic_stack: false
    .vgpr_count:     30
    .vgpr_spill_count: 0
    .wavefront_size: 64
  - .agpr_count:     0
    .args:
      - .offset:         0
        .size:           4
        .value_kind:     by_value
      - .offset:         4
        .size:           4
        .value_kind:     by_value
      - .offset:         8
        .size:           4
        .value_kind:     by_value
      - .offset:         12
        .size:           4
        .value_kind:     by_value
      - .actual_access:  read_only
        .address_space:  global
        .offset:         16
        .size:           8
        .value_kind:     global_buffer
      - .actual_access:  read_only
        .address_space:  global
        .offset:         24
        .size:           8
        .value_kind:     global_buffer
      - .actual_access:  read_only
        .address_space:  global
        .offset:         32
        .size:           8
        .value_kind:     global_buffer
      - .actual_access:  read_only
        .address_space:  global
        .offset:         40
        .size:           8
        .value_kind:     global_buffer
      - .actual_access:  write_only
        .address_space:  global
        .offset:         48
        .size:           8
        .value_kind:     global_buffer
      - .actual_access:  write_only
        .address_space:  global
        .offset:         56
        .size:           8
        .value_kind:     global_buffer
      - .actual_access:  write_only
        .address_space:  global
        .offset:         64
        .size:           8
        .value_kind:     global_buffer
      - .actual_access:  write_only
        .address_space:  global
        .offset:         72
        .size:           8
        .value_kind:     global_buffer
    .group_segment_fixed_size: 0
    .kernarg_segment_align: 8
    .kernarg_segment_size: 80
    .language:       OpenCL C
    .language_version:
      - 2
      - 0
    .max_flat_workgroup_size: 256
    .name:           _ZN9rocsparseL44gtsv_nopivot_strided_batch_pcr_stage1_kernelILj256E21rocsparse_complex_numIfEEEviiiiPKT0_S5_S5_S5_PS3_S6_S6_S6_
    .private_segment_fixed_size: 0
    .sgpr_count:     32
    .sgpr_spill_count: 0
    .symbol:         _ZN9rocsparseL44gtsv_nopivot_strided_batch_pcr_stage1_kernelILj256E21rocsparse_complex_numIfEEEviiiiPKT0_S5_S5_S5_PS3_S6_S6_S6_.kd
    .uniform_work_group_size: 1
    .uses_dynamic_stack: false
    .vgpr_count:     32
    .vgpr_spill_count: 0
    .wavefront_size: 64
  - .agpr_count:     0
    .args:
      - .offset:         0
        .size:           4
        .value_kind:     by_value
      - .offset:         4
        .size:           4
        .value_kind:     by_value
      - .offset:         8
        .size:           4
        .value_kind:     by_value
      - .actual_access:  read_only
        .address_space:  global
        .offset:         16
        .size:           8
        .value_kind:     global_buffer
      - .actual_access:  read_only
        .address_space:  global
        .offset:         24
        .size:           8
        .value_kind:     global_buffer
      - .actual_access:  read_only
        .address_space:  global
        .offset:         32
        .size:           8
        .value_kind:     global_buffer
      - .actual_access:  read_only
        .address_space:  global
        .offset:         40
        .size:           8
        .value_kind:     global_buffer
      - .actual_access:  write_only
        .address_space:  global
        .offset:         48
        .size:           8
        .value_kind:     global_buffer
      - .offset:         56
        .size:           4
        .value_kind:     hidden_block_count_x
      - .offset:         60
        .size:           4
        .value_kind:     hidden_block_count_y
      - .offset:         64
        .size:           4
        .value_kind:     hidden_block_count_z
      - .offset:         68
        .size:           2
        .value_kind:     hidden_group_size_x
      - .offset:         70
        .size:           2
        .value_kind:     hidden_group_size_y
      - .offset:         72
        .size:           2
        .value_kind:     hidden_group_size_z
      - .offset:         74
        .size:           2
        .value_kind:     hidden_remainder_x
      - .offset:         76
        .size:           2
        .value_kind:     hidden_remainder_y
      - .offset:         78
        .size:           2
        .value_kind:     hidden_remainder_z
      - .offset:         96
        .size:           8
        .value_kind:     hidden_global_offset_x
      - .offset:         104
        .size:           8
        .value_kind:     hidden_global_offset_y
      - .offset:         112
        .size:           8
        .value_kind:     hidden_global_offset_z
      - .offset:         120
        .size:           2
        .value_kind:     hidden_grid_dims
    .group_segment_fixed_size: 20480
    .kernarg_segment_align: 8
    .kernarg_segment_size: 312
    .language:       OpenCL C
    .language_version:
      - 2
      - 0
    .max_flat_workgroup_size: 512
    .name:           _ZN9rocsparseL44gtsv_nopivot_strided_batch_pcr_stage2_kernelILj512E21rocsparse_complex_numIfEEEviiiPKT0_S5_S5_S5_PS3_
    .private_segment_fixed_size: 0
    .sgpr_count:     20
    .sgpr_spill_count: 0
    .symbol:         _ZN9rocsparseL44gtsv_nopivot_strided_batch_pcr_stage2_kernelILj512E21rocsparse_complex_numIfEEEviiiPKT0_S5_S5_S5_PS3_.kd
    .uniform_work_group_size: 1
    .uses_dynamic_stack: false
    .vgpr_count:     35
    .vgpr_spill_count: 0
    .wavefront_size: 64
  - .agpr_count:     0
    .args:
      - .offset:         0
        .size:           4
        .value_kind:     by_value
      - .offset:         4
        .size:           4
        .value_kind:     by_value
      - .offset:         8
        .size:           4
        .value_kind:     by_value
      - .actual_access:  read_only
        .address_space:  global
        .offset:         16
        .size:           8
        .value_kind:     global_buffer
      - .actual_access:  read_only
        .address_space:  global
        .offset:         24
        .size:           8
        .value_kind:     global_buffer
      - .actual_access:  read_only
        .address_space:  global
        .offset:         32
        .size:           8
        .value_kind:     global_buffer
      - .address_space:  global
        .offset:         40
        .size:           8
        .value_kind:     global_buffer
    .group_segment_fixed_size: 240
    .kernarg_segment_align: 8
    .kernarg_segment_size: 48
    .language:       OpenCL C
    .language_version:
      - 2
      - 0
    .max_flat_workgroup_size: 2
    .name:           _ZN9rocsparseL49gtsv_nopivot_strided_batch_pcr_pow2_shared_kernelILj2E21rocsparse_complex_numIdEEEviiiPKT0_S5_S5_PS3_
    .private_segment_fixed_size: 0
    .sgpr_count:     20
    .sgpr_spill_count: 0
    .symbol:         _ZN9rocsparseL49gtsv_nopivot_strided_batch_pcr_pow2_shared_kernelILj2E21rocsparse_complex_numIdEEEviiiPKT0_S5_S5_PS3_.kd
    .uniform_work_group_size: 1
    .uses_dynamic_stack: false
    .vgpr_count:     43
    .vgpr_spill_count: 0
    .wavefront_size: 64
  - .agpr_count:     0
    .args:
      - .offset:         0
        .size:           4
        .value_kind:     by_value
      - .offset:         4
        .size:           4
        .value_kind:     by_value
      - .offset:         8
        .size:           4
        .value_kind:     by_value
      - .actual_access:  read_only
        .address_space:  global
        .offset:         16
        .size:           8
        .value_kind:     global_buffer
      - .actual_access:  read_only
        .address_space:  global
        .offset:         24
        .size:           8
        .value_kind:     global_buffer
      - .actual_access:  read_only
        .address_space:  global
        .offset:         32
        .size:           8
        .value_kind:     global_buffer
      - .address_space:  global
        .offset:         40
        .size:           8
        .value_kind:     global_buffer
    .group_segment_fixed_size: 400
    .kernarg_segment_align: 8
    .kernarg_segment_size: 48
    .language:       OpenCL C
    .language_version:
      - 2
      - 0
    .max_flat_workgroup_size: 4
    .name:           _ZN9rocsparseL49gtsv_nopivot_strided_batch_pcr_pow2_shared_kernelILj4E21rocsparse_complex_numIdEEEviiiPKT0_S5_S5_PS3_
    .private_segment_fixed_size: 0
    .sgpr_count:     20
    .sgpr_spill_count: 0
    .symbol:         _ZN9rocsparseL49gtsv_nopivot_strided_batch_pcr_pow2_shared_kernelILj4E21rocsparse_complex_numIdEEEviiiPKT0_S5_S5_PS3_.kd
    .uniform_work_group_size: 1
    .uses_dynamic_stack: false
    .vgpr_count:     57
    .vgpr_spill_count: 0
    .wavefront_size: 64
  - .agpr_count:     0
    .args:
      - .offset:         0
        .size:           4
        .value_kind:     by_value
      - .offset:         4
        .size:           4
        .value_kind:     by_value
      - .offset:         8
        .size:           4
        .value_kind:     by_value
      - .actual_access:  read_only
        .address_space:  global
        .offset:         16
        .size:           8
        .value_kind:     global_buffer
      - .actual_access:  read_only
        .address_space:  global
        .offset:         24
        .size:           8
        .value_kind:     global_buffer
      - .actual_access:  read_only
        .address_space:  global
        .offset:         32
        .size:           8
        .value_kind:     global_buffer
      - .address_space:  global
        .offset:         40
        .size:           8
        .value_kind:     global_buffer
    .group_segment_fixed_size: 720
    .kernarg_segment_align: 8
    .kernarg_segment_size: 48
    .language:       OpenCL C
    .language_version:
      - 2
      - 0
    .max_flat_workgroup_size: 8
    .name:           _ZN9rocsparseL49gtsv_nopivot_strided_batch_pcr_pow2_shared_kernelILj8E21rocsparse_complex_numIdEEEviiiPKT0_S5_S5_PS3_
    .private_segment_fixed_size: 0
    .sgpr_count:     20
    .sgpr_spill_count: 0
    .symbol:         _ZN9rocsparseL49gtsv_nopivot_strided_batch_pcr_pow2_shared_kernelILj8E21rocsparse_complex_numIdEEEviiiPKT0_S5_S5_PS3_.kd
    .uniform_work_group_size: 1
    .uses_dynamic_stack: false
    .vgpr_count:     57
    .vgpr_spill_count: 0
    .wavefront_size: 64
  - .agpr_count:     0
    .args:
      - .offset:         0
        .size:           4
        .value_kind:     by_value
      - .offset:         4
        .size:           4
        .value_kind:     by_value
      - .offset:         8
        .size:           4
        .value_kind:     by_value
      - .actual_access:  read_only
        .address_space:  global
        .offset:         16
        .size:           8
        .value_kind:     global_buffer
      - .actual_access:  read_only
        .address_space:  global
        .offset:         24
        .size:           8
        .value_kind:     global_buffer
      - .actual_access:  read_only
        .address_space:  global
        .offset:         32
        .size:           8
        .value_kind:     global_buffer
      - .address_space:  global
        .offset:         40
        .size:           8
        .value_kind:     global_buffer
    .group_segment_fixed_size: 1360
    .kernarg_segment_align: 8
    .kernarg_segment_size: 48
    .language:       OpenCL C
    .language_version:
      - 2
      - 0
    .max_flat_workgroup_size: 16
    .name:           _ZN9rocsparseL49gtsv_nopivot_strided_batch_pcr_pow2_shared_kernelILj16E21rocsparse_complex_numIdEEEviiiPKT0_S5_S5_PS3_
    .private_segment_fixed_size: 0
    .sgpr_count:     20
    .sgpr_spill_count: 0
    .symbol:         _ZN9rocsparseL49gtsv_nopivot_strided_batch_pcr_pow2_shared_kernelILj16E21rocsparse_complex_numIdEEEviiiPKT0_S5_S5_PS3_.kd
    .uniform_work_group_size: 1
    .uses_dynamic_stack: false
    .vgpr_count:     57
    .vgpr_spill_count: 0
    .wavefront_size: 64
  - .agpr_count:     0
    .args:
      - .offset:         0
        .size:           4
        .value_kind:     by_value
      - .offset:         4
        .size:           4
        .value_kind:     by_value
      - .offset:         8
        .size:           4
        .value_kind:     by_value
      - .actual_access:  read_only
        .address_space:  global
        .offset:         16
        .size:           8
        .value_kind:     global_buffer
      - .actual_access:  read_only
        .address_space:  global
        .offset:         24
        .size:           8
        .value_kind:     global_buffer
      - .actual_access:  read_only
        .address_space:  global
        .offset:         32
        .size:           8
        .value_kind:     global_buffer
      - .address_space:  global
        .offset:         40
        .size:           8
        .value_kind:     global_buffer
    .group_segment_fixed_size: 2640
    .kernarg_segment_align: 8
    .kernarg_segment_size: 48
    .language:       OpenCL C
    .language_version:
      - 2
      - 0
    .max_flat_workgroup_size: 32
    .name:           _ZN9rocsparseL49gtsv_nopivot_strided_batch_pcr_pow2_shared_kernelILj32E21rocsparse_complex_numIdEEEviiiPKT0_S5_S5_PS3_
    .private_segment_fixed_size: 0
    .sgpr_count:     20
    .sgpr_spill_count: 0
    .symbol:         _ZN9rocsparseL49gtsv_nopivot_strided_batch_pcr_pow2_shared_kernelILj32E21rocsparse_complex_numIdEEEviiiPKT0_S5_S5_PS3_.kd
    .uniform_work_group_size: 1
    .uses_dynamic_stack: false
    .vgpr_count:     58
    .vgpr_spill_count: 0
    .wavefront_size: 64
  - .agpr_count:     0
    .args:
      - .offset:         0
        .size:           4
        .value_kind:     by_value
      - .offset:         4
        .size:           4
        .value_kind:     by_value
      - .offset:         8
        .size:           4
        .value_kind:     by_value
      - .actual_access:  read_only
        .address_space:  global
        .offset:         16
        .size:           8
        .value_kind:     global_buffer
      - .actual_access:  read_only
        .address_space:  global
        .offset:         24
        .size:           8
        .value_kind:     global_buffer
      - .actual_access:  read_only
        .address_space:  global
        .offset:         32
        .size:           8
        .value_kind:     global_buffer
      - .address_space:  global
        .offset:         40
        .size:           8
        .value_kind:     global_buffer
    .group_segment_fixed_size: 5200
    .kernarg_segment_align: 8
    .kernarg_segment_size: 48
    .language:       OpenCL C
    .language_version:
      - 2
      - 0
    .max_flat_workgroup_size: 64
    .name:           _ZN9rocsparseL49gtsv_nopivot_strided_batch_pcr_pow2_shared_kernelILj64E21rocsparse_complex_numIdEEEviiiPKT0_S5_S5_PS3_
    .private_segment_fixed_size: 0
    .sgpr_count:     20
    .sgpr_spill_count: 0
    .symbol:         _ZN9rocsparseL49gtsv_nopivot_strided_batch_pcr_pow2_shared_kernelILj64E21rocsparse_complex_numIdEEEviiiPKT0_S5_S5_PS3_.kd
    .uniform_work_group_size: 1
    .uses_dynamic_stack: false
    .vgpr_count:     59
    .vgpr_spill_count: 0
    .wavefront_size: 64
  - .agpr_count:     0
    .args:
      - .offset:         0
        .size:           4
        .value_kind:     by_value
      - .offset:         4
        .size:           4
        .value_kind:     by_value
      - .offset:         8
        .size:           4
        .value_kind:     by_value
      - .actual_access:  read_only
        .address_space:  global
        .offset:         16
        .size:           8
        .value_kind:     global_buffer
      - .actual_access:  read_only
        .address_space:  global
        .offset:         24
        .size:           8
        .value_kind:     global_buffer
      - .actual_access:  read_only
        .address_space:  global
        .offset:         32
        .size:           8
        .value_kind:     global_buffer
      - .address_space:  global
        .offset:         40
        .size:           8
        .value_kind:     global_buffer
    .group_segment_fixed_size: 15360
    .kernarg_segment_align: 8
    .kernarg_segment_size: 48
    .language:       OpenCL C
    .language_version:
      - 2
      - 0
    .max_flat_workgroup_size: 64
    .name:           _ZN9rocsparseL51gtsv_nopivot_strided_batch_crpcr_pow2_shared_kernelILj64ELj64E21rocsparse_complex_numIdEEEviiiPKT1_S5_S5_PS3_
    .private_segment_fixed_size: 0
    .sgpr_count:     20
    .sgpr_spill_count: 0
    .symbol:         _ZN9rocsparseL51gtsv_nopivot_strided_batch_crpcr_pow2_shared_kernelILj64ELj64E21rocsparse_complex_numIdEEEviiiPKT1_S5_S5_PS3_.kd
    .uniform_work_group_size: 1
    .uses_dynamic_stack: false
    .vgpr_count:     51
    .vgpr_spill_count: 0
    .wavefront_size: 64
  - .agpr_count:     0
    .args:
      - .offset:         0
        .size:           4
        .value_kind:     by_value
      - .offset:         4
        .size:           4
        .value_kind:     by_value
      - .offset:         8
        .size:           4
        .value_kind:     by_value
      - .actual_access:  read_only
        .address_space:  global
        .offset:         16
        .size:           8
        .value_kind:     global_buffer
      - .actual_access:  read_only
        .address_space:  global
        .offset:         24
        .size:           8
        .value_kind:     global_buffer
      - .actual_access:  read_only
        .address_space:  global
        .offset:         32
        .size:           8
        .value_kind:     global_buffer
      - .address_space:  global
        .offset:         40
        .size:           8
        .value_kind:     global_buffer
    .group_segment_fixed_size: 25600
    .kernarg_segment_align: 8
    .kernarg_segment_size: 48
    .language:       OpenCL C
    .language_version:
      - 2
      - 0
    .max_flat_workgroup_size: 128
    .name:           _ZN9rocsparseL51gtsv_nopivot_strided_batch_crpcr_pow2_shared_kernelILj128ELj64E21rocsparse_complex_numIdEEEviiiPKT1_S5_S5_PS3_
    .private_segment_fixed_size: 0
    .sgpr_count:     20
    .sgpr_spill_count: 0
    .symbol:         _ZN9rocsparseL51gtsv_nopivot_strided_batch_crpcr_pow2_shared_kernelILj128ELj64E21rocsparse_complex_numIdEEEviiiPKT1_S5_S5_PS3_.kd
    .uniform_work_group_size: 1
    .uses_dynamic_stack: false
    .vgpr_count:     49
    .vgpr_spill_count: 0
    .wavefront_size: 64
  - .agpr_count:     0
    .args:
      - .offset:         0
        .size:           4
        .value_kind:     by_value
      - .offset:         4
        .size:           4
        .value_kind:     by_value
      - .offset:         8
        .size:           4
        .value_kind:     by_value
      - .actual_access:  read_only
        .address_space:  global
        .offset:         16
        .size:           8
        .value_kind:     global_buffer
      - .actual_access:  read_only
        .address_space:  global
        .offset:         24
        .size:           8
        .value_kind:     global_buffer
      - .actual_access:  read_only
        .address_space:  global
        .offset:         32
        .size:           8
        .value_kind:     global_buffer
      - .address_space:  global
        .offset:         40
        .size:           8
        .value_kind:     global_buffer
    .group_segment_fixed_size: 46080
    .kernarg_segment_align: 8
    .kernarg_segment_size: 48
    .language:       OpenCL C
    .language_version:
      - 2
      - 0
    .max_flat_workgroup_size: 256
    .name:           _ZN9rocsparseL51gtsv_nopivot_strided_batch_crpcr_pow2_shared_kernelILj256ELj64E21rocsparse_complex_numIdEEEviiiPKT1_S5_S5_PS3_
    .private_segment_fixed_size: 0
    .sgpr_count:     20
    .sgpr_spill_count: 0
    .symbol:         _ZN9rocsparseL51gtsv_nopivot_strided_batch_crpcr_pow2_shared_kernelILj256ELj64E21rocsparse_complex_numIdEEEviiiPKT1_S5_S5_PS3_.kd
    .uniform_work_group_size: 1
    .uses_dynamic_stack: false
    .vgpr_count:     49
    .vgpr_spill_count: 0
    .wavefront_size: 64
  - .agpr_count:     0
    .args:
      - .offset:         0
        .size:           4
        .value_kind:     by_value
      - .offset:         4
        .size:           4
        .value_kind:     by_value
      - .offset:         8
        .size:           4
        .value_kind:     by_value
      - .actual_access:  read_only
        .address_space:  global
        .offset:         16
        .size:           8
        .value_kind:     global_buffer
      - .actual_access:  read_only
        .address_space:  global
        .offset:         24
        .size:           8
        .value_kind:     global_buffer
      - .actual_access:  read_only
        .address_space:  global
        .offset:         32
        .size:           8
        .value_kind:     global_buffer
      - .address_space:  global
        .offset:         40
        .size:           8
        .value_kind:     global_buffer
    .group_segment_fixed_size: 320
    .kernarg_segment_align: 8
    .kernarg_segment_size: 48
    .language:       OpenCL C
    .language_version:
      - 2
      - 0
    .max_flat_workgroup_size: 4
    .name:           _ZN9rocsparseL44gtsv_nopivot_strided_batch_pcr_shared_kernelILj4E21rocsparse_complex_numIdEEEviiiPKT0_S5_S5_PS3_
    .private_segment_fixed_size: 0
    .sgpr_count:     14
    .sgpr_spill_count: 0
    .symbol:         _ZN9rocsparseL44gtsv_nopivot_strided_batch_pcr_shared_kernelILj4E21rocsparse_complex_numIdEEEviiiPKT0_S5_S5_PS3_.kd
    .uniform_work_group_size: 1
    .uses_dynamic_stack: false
    .vgpr_count:     43
    .vgpr_spill_count: 0
    .wavefront_size: 64
  - .agpr_count:     0
    .args:
      - .offset:         0
        .size:           4
        .value_kind:     by_value
      - .offset:         4
        .size:           4
        .value_kind:     by_value
      - .offset:         8
        .size:           4
        .value_kind:     by_value
      - .actual_access:  read_only
        .address_space:  global
        .offset:         16
        .size:           8
        .value_kind:     global_buffer
      - .actual_access:  read_only
        .address_space:  global
        .offset:         24
        .size:           8
        .value_kind:     global_buffer
      - .actual_access:  read_only
        .address_space:  global
        .offset:         32
        .size:           8
        .value_kind:     global_buffer
      - .address_space:  global
        .offset:         40
        .size:           8
        .value_kind:     global_buffer
    .group_segment_fixed_size: 640
    .kernarg_segment_align: 8
    .kernarg_segment_size: 48
    .language:       OpenCL C
    .language_version:
      - 2
      - 0
    .max_flat_workgroup_size: 8
    .name:           _ZN9rocsparseL44gtsv_nopivot_strided_batch_pcr_shared_kernelILj8E21rocsparse_complex_numIdEEEviiiPKT0_S5_S5_PS3_
    .private_segment_fixed_size: 0
    .sgpr_count:     14
    .sgpr_spill_count: 0
    .symbol:         _ZN9rocsparseL44gtsv_nopivot_strided_batch_pcr_shared_kernelILj8E21rocsparse_complex_numIdEEEviiiPKT0_S5_S5_PS3_.kd
    .uniform_work_group_size: 1
    .uses_dynamic_stack: false
    .vgpr_count:     44
    .vgpr_spill_count: 0
    .wavefront_size: 64
  - .agpr_count:     0
    .args:
      - .offset:         0
        .size:           4
        .value_kind:     by_value
      - .offset:         4
        .size:           4
        .value_kind:     by_value
      - .offset:         8
        .size:           4
        .value_kind:     by_value
      - .actual_access:  read_only
        .address_space:  global
        .offset:         16
        .size:           8
        .value_kind:     global_buffer
      - .actual_access:  read_only
        .address_space:  global
        .offset:         24
        .size:           8
        .value_kind:     global_buffer
      - .actual_access:  read_only
        .address_space:  global
        .offset:         32
        .size:           8
        .value_kind:     global_buffer
      - .address_space:  global
        .offset:         40
        .size:           8
        .value_kind:     global_buffer
    .group_segment_fixed_size: 1280
    .kernarg_segment_align: 8
    .kernarg_segment_size: 48
    .language:       OpenCL C
    .language_version:
      - 2
      - 0
    .max_flat_workgroup_size: 16
    .name:           _ZN9rocsparseL44gtsv_nopivot_strided_batch_pcr_shared_kernelILj16E21rocsparse_complex_numIdEEEviiiPKT0_S5_S5_PS3_
    .private_segment_fixed_size: 0
    .sgpr_count:     14
    .sgpr_spill_count: 0
    .symbol:         _ZN9rocsparseL44gtsv_nopivot_strided_batch_pcr_shared_kernelILj16E21rocsparse_complex_numIdEEEviiiPKT0_S5_S5_PS3_.kd
    .uniform_work_group_size: 1
    .uses_dynamic_stack: false
    .vgpr_count:     44
    .vgpr_spill_count: 0
    .wavefront_size: 64
  - .agpr_count:     0
    .args:
      - .offset:         0
        .size:           4
        .value_kind:     by_value
      - .offset:         4
        .size:           4
        .value_kind:     by_value
      - .offset:         8
        .size:           4
        .value_kind:     by_value
      - .actual_access:  read_only
        .address_space:  global
        .offset:         16
        .size:           8
        .value_kind:     global_buffer
      - .actual_access:  read_only
        .address_space:  global
        .offset:         24
        .size:           8
        .value_kind:     global_buffer
      - .actual_access:  read_only
        .address_space:  global
        .offset:         32
        .size:           8
        .value_kind:     global_buffer
      - .address_space:  global
        .offset:         40
        .size:           8
        .value_kind:     global_buffer
    .group_segment_fixed_size: 2560
    .kernarg_segment_align: 8
    .kernarg_segment_size: 48
    .language:       OpenCL C
    .language_version:
      - 2
      - 0
    .max_flat_workgroup_size: 32
    .name:           _ZN9rocsparseL44gtsv_nopivot_strided_batch_pcr_shared_kernelILj32E21rocsparse_complex_numIdEEEviiiPKT0_S5_S5_PS3_
    .private_segment_fixed_size: 0
    .sgpr_count:     14
    .sgpr_spill_count: 0
    .symbol:         _ZN9rocsparseL44gtsv_nopivot_strided_batch_pcr_shared_kernelILj32E21rocsparse_complex_numIdEEEviiiPKT0_S5_S5_PS3_.kd
    .uniform_work_group_size: 1
    .uses_dynamic_stack: false
    .vgpr_count:     44
    .vgpr_spill_count: 0
    .wavefront_size: 64
  - .agpr_count:     0
    .args:
      - .offset:         0
        .size:           4
        .value_kind:     by_value
      - .offset:         4
        .size:           4
        .value_kind:     by_value
      - .offset:         8
        .size:           4
        .value_kind:     by_value
      - .actual_access:  read_only
        .address_space:  global
        .offset:         16
        .size:           8
        .value_kind:     global_buffer
      - .actual_access:  read_only
        .address_space:  global
        .offset:         24
        .size:           8
        .value_kind:     global_buffer
      - .actual_access:  read_only
        .address_space:  global
        .offset:         32
        .size:           8
        .value_kind:     global_buffer
      - .address_space:  global
        .offset:         40
        .size:           8
        .value_kind:     global_buffer
    .group_segment_fixed_size: 5120
    .kernarg_segment_align: 8
    .kernarg_segment_size: 48
    .language:       OpenCL C
    .language_version:
      - 2
      - 0
    .max_flat_workgroup_size: 64
    .name:           _ZN9rocsparseL44gtsv_nopivot_strided_batch_pcr_shared_kernelILj64E21rocsparse_complex_numIdEEEviiiPKT0_S5_S5_PS3_
    .private_segment_fixed_size: 0
    .sgpr_count:     14
    .sgpr_spill_count: 0
    .symbol:         _ZN9rocsparseL44gtsv_nopivot_strided_batch_pcr_shared_kernelILj64E21rocsparse_complex_numIdEEEviiiPKT0_S5_S5_PS3_.kd
    .uniform_work_group_size: 1
    .uses_dynamic_stack: false
    .vgpr_count:     44
    .vgpr_spill_count: 0
    .wavefront_size: 64
  - .agpr_count:     0
    .args:
      - .offset:         0
        .size:           4
        .value_kind:     by_value
      - .offset:         4
        .size:           4
        .value_kind:     by_value
      - .offset:         8
        .size:           4
        .value_kind:     by_value
      - .actual_access:  read_only
        .address_space:  global
        .offset:         16
        .size:           8
        .value_kind:     global_buffer
      - .actual_access:  read_only
        .address_space:  global
        .offset:         24
        .size:           8
        .value_kind:     global_buffer
      - .actual_access:  read_only
        .address_space:  global
        .offset:         32
        .size:           8
        .value_kind:     global_buffer
      - .address_space:  global
        .offset:         40
        .size:           8
        .value_kind:     global_buffer
    .group_segment_fixed_size: 10240
    .kernarg_segment_align: 8
    .kernarg_segment_size: 48
    .language:       OpenCL C
    .language_version:
      - 2
      - 0
    .max_flat_workgroup_size: 128
    .name:           _ZN9rocsparseL44gtsv_nopivot_strided_batch_pcr_shared_kernelILj128E21rocsparse_complex_numIdEEEviiiPKT0_S5_S5_PS3_
    .private_segment_fixed_size: 0
    .sgpr_count:     14
    .sgpr_spill_count: 0
    .symbol:         _ZN9rocsparseL44gtsv_nopivot_strided_batch_pcr_shared_kernelILj128E21rocsparse_complex_numIdEEEviiiPKT0_S5_S5_PS3_.kd
    .uniform_work_group_size: 1
    .uses_dynamic_stack: false
    .vgpr_count:     44
    .vgpr_spill_count: 0
    .wavefront_size: 64
  - .agpr_count:     0
    .args:
      - .offset:         0
        .size:           4
        .value_kind:     by_value
      - .offset:         4
        .size:           4
        .value_kind:     by_value
      - .offset:         8
        .size:           4
        .value_kind:     by_value
      - .actual_access:  read_only
        .address_space:  global
        .offset:         16
        .size:           8
        .value_kind:     global_buffer
      - .actual_access:  read_only
        .address_space:  global
        .offset:         24
        .size:           8
        .value_kind:     global_buffer
      - .actual_access:  read_only
        .address_space:  global
        .offset:         32
        .size:           8
        .value_kind:     global_buffer
      - .address_space:  global
        .offset:         40
        .size:           8
        .value_kind:     global_buffer
    .group_segment_fixed_size: 20480
    .kernarg_segment_align: 8
    .kernarg_segment_size: 48
    .language:       OpenCL C
    .language_version:
      - 2
      - 0
    .max_flat_workgroup_size: 256
    .name:           _ZN9rocsparseL44gtsv_nopivot_strided_batch_pcr_shared_kernelILj256E21rocsparse_complex_numIdEEEviiiPKT0_S5_S5_PS3_
    .private_segment_fixed_size: 0
    .sgpr_count:     14
    .sgpr_spill_count: 0
    .symbol:         _ZN9rocsparseL44gtsv_nopivot_strided_batch_pcr_shared_kernelILj256E21rocsparse_complex_numIdEEEviiiPKT0_S5_S5_PS3_.kd
    .uniform_work_group_size: 1
    .uses_dynamic_stack: false
    .vgpr_count:     44
    .vgpr_spill_count: 0
    .wavefront_size: 64
  - .agpr_count:     0
    .args:
      - .offset:         0
        .size:           4
        .value_kind:     by_value
      - .offset:         4
        .size:           4
        .value_kind:     by_value
      - .offset:         8
        .size:           4
        .value_kind:     by_value
      - .actual_access:  read_only
        .address_space:  global
        .offset:         16
        .size:           8
        .value_kind:     global_buffer
      - .actual_access:  read_only
        .address_space:  global
        .offset:         24
        .size:           8
        .value_kind:     global_buffer
      - .actual_access:  read_only
        .address_space:  global
        .offset:         32
        .size:           8
        .value_kind:     global_buffer
      - .address_space:  global
        .offset:         40
        .size:           8
        .value_kind:     global_buffer
    .group_segment_fixed_size: 40960
    .kernarg_segment_align: 8
    .kernarg_segment_size: 48
    .language:       OpenCL C
    .language_version:
      - 2
      - 0
    .max_flat_workgroup_size: 512
    .name:           _ZN9rocsparseL44gtsv_nopivot_strided_batch_pcr_shared_kernelILj512E21rocsparse_complex_numIdEEEviiiPKT0_S5_S5_PS3_
    .private_segment_fixed_size: 0
    .sgpr_count:     14
    .sgpr_spill_count: 0
    .symbol:         _ZN9rocsparseL44gtsv_nopivot_strided_batch_pcr_shared_kernelILj512E21rocsparse_complex_numIdEEEviiiPKT0_S5_S5_PS3_.kd
    .uniform_work_group_size: 1
    .uses_dynamic_stack: false
    .vgpr_count:     68
    .vgpr_spill_count: 0
    .wavefront_size: 64
  - .agpr_count:     0
    .args:
      - .offset:         0
        .size:           4
        .value_kind:     by_value
      - .offset:         4
        .size:           4
        .value_kind:     by_value
      - .offset:         8
        .size:           4
        .value_kind:     by_value
      - .offset:         12
        .size:           4
        .value_kind:     by_value
      - .actual_access:  read_only
        .address_space:  global
        .offset:         16
        .size:           8
        .value_kind:     global_buffer
      - .actual_access:  read_only
        .address_space:  global
        .offset:         24
        .size:           8
        .value_kind:     global_buffer
      - .actual_access:  read_only
        .address_space:  global
        .offset:         32
        .size:           8
        .value_kind:     global_buffer
      - .actual_access:  read_only
        .address_space:  global
        .offset:         40
        .size:           8
        .value_kind:     global_buffer
      - .actual_access:  write_only
        .address_space:  global
        .offset:         48
        .size:           8
        .value_kind:     global_buffer
      - .actual_access:  write_only
        .address_space:  global
        .offset:         56
        .size:           8
        .value_kind:     global_buffer
      - .actual_access:  write_only
        .address_space:  global
        .offset:         64
        .size:           8
        .value_kind:     global_buffer
      - .actual_access:  write_only
        .address_space:  global
        .offset:         72
        .size:           8
        .value_kind:     global_buffer
    .group_segment_fixed_size: 0
    .kernarg_segment_align: 8
    .kernarg_segment_size: 80
    .language:       OpenCL C
    .language_version:
      - 2
      - 0
    .max_flat_workgroup_size: 256
    .name:           _ZN9rocsparseL49gtsv_nopivot_strided_batch_pcr_pow2_stage1_kernelILj256E21rocsparse_complex_numIdEEEviiiiPKT0_S5_S5_S5_PS3_S6_S6_S6_
    .private_segment_fixed_size: 0
    .sgpr_count:     32
    .sgpr_spill_count: 0
    .symbol:         _ZN9rocsparseL49gtsv_nopivot_strided_batch_pcr_pow2_stage1_kernelILj256E21rocsparse_complex_numIdEEEviiiiPKT0_S5_S5_S5_PS3_S6_S6_S6_.kd
    .uniform_work_group_size: 1
    .uses_dynamic_stack: false
    .vgpr_count:     60
    .vgpr_spill_count: 0
    .wavefront_size: 64
  - .agpr_count:     0
    .args:
      - .offset:         0
        .size:           4
        .value_kind:     by_value
      - .offset:         4
        .size:           4
        .value_kind:     by_value
      - .offset:         8
        .size:           4
        .value_kind:     by_value
      - .actual_access:  read_only
        .address_space:  global
        .offset:         16
        .size:           8
        .value_kind:     global_buffer
      - .actual_access:  read_only
        .address_space:  global
        .offset:         24
        .size:           8
        .value_kind:     global_buffer
      - .actual_access:  read_only
        .address_space:  global
        .offset:         32
        .size:           8
        .value_kind:     global_buffer
      - .actual_access:  read_only
        .address_space:  global
        .offset:         40
        .size:           8
        .value_kind:     global_buffer
      - .actual_access:  write_only
        .address_space:  global
        .offset:         48
        .size:           8
        .value_kind:     global_buffer
      - .offset:         56
        .size:           4
        .value_kind:     hidden_block_count_x
      - .offset:         60
        .size:           4
        .value_kind:     hidden_block_count_y
      - .offset:         64
        .size:           4
        .value_kind:     hidden_block_count_z
      - .offset:         68
        .size:           2
        .value_kind:     hidden_group_size_x
      - .offset:         70
        .size:           2
        .value_kind:     hidden_group_size_y
      - .offset:         72
        .size:           2
        .value_kind:     hidden_group_size_z
      - .offset:         74
        .size:           2
        .value_kind:     hidden_remainder_x
      - .offset:         76
        .size:           2
        .value_kind:     hidden_remainder_y
      - .offset:         78
        .size:           2
        .value_kind:     hidden_remainder_z
      - .offset:         96
        .size:           8
        .value_kind:     hidden_global_offset_x
      - .offset:         104
        .size:           8
        .value_kind:     hidden_global_offset_y
      - .offset:         112
        .size:           8
        .value_kind:     hidden_global_offset_z
      - .offset:         120
        .size:           2
        .value_kind:     hidden_grid_dims
    .group_segment_fixed_size: 40960
    .kernarg_segment_align: 8
    .kernarg_segment_size: 312
    .language:       OpenCL C
    .language_version:
      - 2
      - 0
    .max_flat_workgroup_size: 256
    .name:           _ZN9rocsparseL48gtsv_nopivot_strided_batch_cr_pow2_stage2_kernelILj256E21rocsparse_complex_numIdEEEviiiPKT0_S5_S5_S5_PS3_
    .private_segment_fixed_size: 0
    .sgpr_count:     32
    .sgpr_spill_count: 0
    .symbol:         _ZN9rocsparseL48gtsv_nopivot_strided_batch_cr_pow2_stage2_kernelILj256E21rocsparse_complex_numIdEEEviiiPKT0_S5_S5_S5_PS3_.kd
    .uniform_work_group_size: 1
    .uses_dynamic_stack: false
    .vgpr_count:     48
    .vgpr_spill_count: 0
    .wavefront_size: 64
  - .agpr_count:     0
    .args:
      - .offset:         0
        .size:           4
        .value_kind:     by_value
      - .offset:         4
        .size:           4
        .value_kind:     by_value
      - .offset:         8
        .size:           4
        .value_kind:     by_value
      - .offset:         12
        .size:           4
        .value_kind:     by_value
      - .actual_access:  read_only
        .address_space:  global
        .offset:         16
        .size:           8
        .value_kind:     global_buffer
      - .actual_access:  read_only
        .address_space:  global
        .offset:         24
        .size:           8
        .value_kind:     global_buffer
      - .actual_access:  read_only
        .address_space:  global
        .offset:         32
        .size:           8
        .value_kind:     global_buffer
      - .actual_access:  read_only
        .address_space:  global
        .offset:         40
        .size:           8
        .value_kind:     global_buffer
      - .actual_access:  write_only
        .address_space:  global
        .offset:         48
        .size:           8
        .value_kind:     global_buffer
      - .actual_access:  write_only
        .address_space:  global
        .offset:         56
        .size:           8
        .value_kind:     global_buffer
      - .actual_access:  write_only
        .address_space:  global
        .offset:         64
        .size:           8
        .value_kind:     global_buffer
      - .actual_access:  write_only
        .address_space:  global
        .offset:         72
        .size:           8
        .value_kind:     global_buffer
    .group_segment_fixed_size: 0
    .kernarg_segment_align: 8
    .kernarg_segment_size: 80
    .language:       OpenCL C
    .language_version:
      - 2
      - 0
    .max_flat_workgroup_size: 256
    .name:           _ZN9rocsparseL44gtsv_nopivot_strided_batch_pcr_stage1_kernelILj256E21rocsparse_complex_numIdEEEviiiiPKT0_S5_S5_S5_PS3_S6_S6_S6_
    .private_segment_fixed_size: 0
    .sgpr_count:     30
    .sgpr_spill_count: 0
    .symbol:         _ZN9rocsparseL44gtsv_nopivot_strided_batch_pcr_stage1_kernelILj256E21rocsparse_complex_numIdEEEviiiiPKT0_S5_S5_S5_PS3_S6_S6_S6_.kd
    .uniform_work_group_size: 1
    .uses_dynamic_stack: false
    .vgpr_count:     60
    .vgpr_spill_count: 0
    .wavefront_size: 64
  - .agpr_count:     0
    .args:
      - .offset:         0
        .size:           4
        .value_kind:     by_value
      - .offset:         4
        .size:           4
        .value_kind:     by_value
      - .offset:         8
        .size:           4
        .value_kind:     by_value
      - .actual_access:  read_only
        .address_space:  global
        .offset:         16
        .size:           8
        .value_kind:     global_buffer
      - .actual_access:  read_only
        .address_space:  global
        .offset:         24
        .size:           8
        .value_kind:     global_buffer
      - .actual_access:  read_only
        .address_space:  global
        .offset:         32
        .size:           8
        .value_kind:     global_buffer
      - .actual_access:  read_only
        .address_space:  global
        .offset:         40
        .size:           8
        .value_kind:     global_buffer
      - .actual_access:  write_only
        .address_space:  global
        .offset:         48
        .size:           8
        .value_kind:     global_buffer
      - .offset:         56
        .size:           4
        .value_kind:     hidden_block_count_x
      - .offset:         60
        .size:           4
        .value_kind:     hidden_block_count_y
      - .offset:         64
        .size:           4
        .value_kind:     hidden_block_count_z
      - .offset:         68
        .size:           2
        .value_kind:     hidden_group_size_x
      - .offset:         70
        .size:           2
        .value_kind:     hidden_group_size_y
      - .offset:         72
        .size:           2
        .value_kind:     hidden_group_size_z
      - .offset:         74
        .size:           2
        .value_kind:     hidden_remainder_x
      - .offset:         76
        .size:           2
        .value_kind:     hidden_remainder_y
      - .offset:         78
        .size:           2
        .value_kind:     hidden_remainder_z
      - .offset:         96
        .size:           8
        .value_kind:     hidden_global_offset_x
      - .offset:         104
        .size:           8
        .value_kind:     hidden_global_offset_y
      - .offset:         112
        .size:           8
        .value_kind:     hidden_global_offset_z
      - .offset:         120
        .size:           2
        .value_kind:     hidden_grid_dims
    .group_segment_fixed_size: 40960
    .kernarg_segment_align: 8
    .kernarg_segment_size: 312
    .language:       OpenCL C
    .language_version:
      - 2
      - 0
    .max_flat_workgroup_size: 512
    .name:           _ZN9rocsparseL44gtsv_nopivot_strided_batch_pcr_stage2_kernelILj512E21rocsparse_complex_numIdEEEviiiPKT0_S5_S5_S5_PS3_
    .private_segment_fixed_size: 0
    .sgpr_count:     20
    .sgpr_spill_count: 0
    .symbol:         _ZN9rocsparseL44gtsv_nopivot_strided_batch_pcr_stage2_kernelILj512E21rocsparse_complex_numIdEEEviiiPKT0_S5_S5_S5_PS3_.kd
    .uniform_work_group_size: 1
    .uses_dynamic_stack: false
    .vgpr_count:     66
    .vgpr_spill_count: 0
    .wavefront_size: 64
amdhsa.target:   amdgcn-amd-amdhsa--gfx90a
amdhsa.version:
  - 1
  - 2
...

	.end_amdgpu_metadata
